;; amdgpu-corpus repo=ROCm/rocFFT kind=compiled arch=gfx1201 opt=O3
	.text
	.amdgcn_target "amdgcn-amd-amdhsa--gfx1201"
	.amdhsa_code_object_version 6
	.protected	bluestein_single_back_len1404_dim1_half_op_CI_CI ; -- Begin function bluestein_single_back_len1404_dim1_half_op_CI_CI
	.globl	bluestein_single_back_len1404_dim1_half_op_CI_CI
	.p2align	8
	.type	bluestein_single_back_len1404_dim1_half_op_CI_CI,@function
bluestein_single_back_len1404_dim1_half_op_CI_CI: ; @bluestein_single_back_len1404_dim1_half_op_CI_CI
; %bb.0:
	s_load_b128 s[12:15], s[0:1], 0x28
	v_mul_u32_u24_e32 v1, 0x231, v0
	s_mov_b32 s2, exec_lo
	v_mov_b32_e32 v13, 0
	s_delay_alu instid0(VALU_DEP_2) | instskip(NEXT) | instid1(VALU_DEP_1)
	v_lshrrev_b32_e32 v1, 16, v1
	v_add_nc_u32_e32 v12, ttmp9, v1
	s_wait_kmcnt 0x0
	s_delay_alu instid0(VALU_DEP_1)
	v_cmpx_gt_u64_e64 s[12:13], v[12:13]
	s_cbranch_execz .LBB0_10
; %bb.1:
	s_clause 0x1
	s_load_b128 s[4:7], s[0:1], 0x18
	s_load_b128 s[8:11], s[0:1], 0x0
	v_mul_lo_u16 v1, 0x75, v1
	s_movk_i32 s2, 0xf6dc
	s_mov_b32 s3, -1
                                        ; implicit-def: $vgpr138
                                        ; implicit-def: $vgpr139
	s_delay_alu instid0(VALU_DEP_1) | instskip(NEXT) | instid1(VALU_DEP_1)
	v_sub_nc_u16 v0, v0, v1
	v_and_b32_e32 v58, 0xffff, v0
	s_delay_alu instid0(VALU_DEP_1)
	v_lshlrev_b32_e32 v64, 2, v58
	v_add_nc_u32_e32 v68, 0x249, v58
	v_add_co_u32 v35, null, 0x15f, v58
	s_wait_kmcnt 0x0
	s_load_b128 s[16:19], s[4:5], 0x0
	s_clause 0xb
	global_load_b32 v63, v64, s[8:9]
	global_load_b32 v59, v64, s[8:9] offset:468
	global_load_b32 v54, v64, s[8:9] offset:936
	;; [unrolled: 1-line block ×11, first 2 shown]
	v_lshlrev_b32_e32 v26, 1, v58
	v_and_b32_e32 v29, 1, v35
	v_lshlrev_b32_e32 v70, 3, v58
	v_lshlrev_b32_e32 v76, 3, v35
	s_delay_alu instid0(VALU_DEP_4) | instskip(NEXT) | instid1(VALU_DEP_4)
	v_lshlrev_b32_e32 v34, 2, v26
	v_lshlrev_b32_e32 v32, 2, v29
	v_add_nc_u32_e32 v111, 0x3a8, v26
	s_wait_kmcnt 0x0
	v_mad_co_u64_u32 v[1:2], null, s18, v12, 0
	v_mad_co_u64_u32 v[3:4], null, s16, v58, 0
	s_mul_u64 s[4:5], s[16:17], 0xaf8
	s_mul_u64 s[2:3], s[16:17], s[2:3]
	s_delay_alu instid0(VALU_DEP_1) | instskip(NEXT) | instid1(VALU_DEP_1)
	v_mad_co_u64_u32 v[5:6], null, s19, v12, v[2:3]
	v_mad_co_u64_u32 v[6:7], null, s17, v58, v[4:5]
	v_dual_mov_b32 v2, v5 :: v_dual_add_nc_u32 v5, 0xa00, v64
	v_add_nc_u32_e32 v7, 0x1200, v64
	s_delay_alu instid0(VALU_DEP_2) | instskip(NEXT) | instid1(VALU_DEP_4)
	v_lshlrev_b64_e32 v[1:2], 2, v[1:2]
	v_mov_b32_e32 v4, v6
	v_add_nc_u32_e32 v6, 0xe00, v64
	s_delay_alu instid0(VALU_DEP_2) | instskip(NEXT) | instid1(VALU_DEP_4)
	v_lshlrev_b64_e32 v[3:4], 2, v[3:4]
	v_add_co_u32 v1, vcc_lo, s14, v1
	v_add_co_ci_u32_e32 v2, vcc_lo, s15, v2, vcc_lo
	s_delay_alu instid0(VALU_DEP_2) | instskip(SKIP_1) | instid1(VALU_DEP_2)
	v_add_co_u32 v1, vcc_lo, v1, v3
	s_wait_alu 0xfffd
	v_add_co_ci_u32_e32 v2, vcc_lo, v2, v4, vcc_lo
	s_delay_alu instid0(VALU_DEP_2) | instskip(SKIP_1) | instid1(VALU_DEP_2)
	v_add_co_u32 v3, vcc_lo, v1, s4
	s_wait_alu 0xfffd
	v_add_co_ci_u32_e32 v4, vcc_lo, s5, v2, vcc_lo
	s_clause 0x1
	global_load_b32 v8, v[1:2], off
	global_load_b32 v9, v[3:4], off
	v_add_co_u32 v1, vcc_lo, v3, s2
	s_wait_alu 0xfffd
	v_add_co_ci_u32_e32 v2, vcc_lo, s3, v4, vcc_lo
	s_delay_alu instid0(VALU_DEP_2) | instskip(SKIP_1) | instid1(VALU_DEP_2)
	v_add_co_u32 v3, vcc_lo, v1, s4
	s_wait_alu 0xfffd
	v_add_co_ci_u32_e32 v4, vcc_lo, s5, v2, vcc_lo
	s_clause 0x1
	global_load_b32 v10, v[1:2], off
	global_load_b32 v11, v[3:4], off
	v_add_co_u32 v1, vcc_lo, v3, s2
	s_wait_alu 0xfffd
	v_add_co_ci_u32_e32 v2, vcc_lo, s3, v4, vcc_lo
	s_delay_alu instid0(VALU_DEP_2) | instskip(SKIP_1) | instid1(VALU_DEP_2)
	v_add_co_u32 v3, vcc_lo, v1, s4
	s_wait_alu 0xfffd
	v_add_co_ci_u32_e32 v4, vcc_lo, s5, v2, vcc_lo
	global_load_b32 v13, v[1:2], off
	global_load_b32 v14, v[3:4], off
	v_add_co_u32 v1, vcc_lo, v3, s2
	s_wait_alu 0xfffd
	v_add_co_ci_u32_e32 v2, vcc_lo, s3, v4, vcc_lo
	s_delay_alu instid0(VALU_DEP_2) | instskip(SKIP_1) | instid1(VALU_DEP_2)
	v_add_co_u32 v3, vcc_lo, v1, s4
	s_wait_alu 0xfffd
	v_add_co_ci_u32_e32 v4, vcc_lo, s5, v2, vcc_lo
	global_load_b32 v15, v[1:2], off
	v_add_co_u32 v1, vcc_lo, v3, s2
	s_wait_alu 0xfffd
	v_add_co_ci_u32_e32 v2, vcc_lo, s3, v4, vcc_lo
	global_load_b32 v16, v[3:4], off
	;; [unrolled: 4-line block ×5, first 2 shown]
	global_load_b32 v20, v[3:4], off
	v_add_co_u32 v36, s2, 0x75, v58
	s_wait_alu 0xf1ff
	v_add_co_ci_u32_e64 v109, null, 0, 0, s2
	v_add_co_u32 v33, s2, 0xea, v58
	v_add_nc_u32_e32 v2, 0xc00, v64
	s_wait_alu 0xf1ff
	v_add_co_ci_u32_e64 v1, null, 0, 0, s2
	v_add_nc_u32_e32 v4, 0x200, v64
	v_add_nc_u32_e32 v1, 0x1000, v64
	v_add_nc_u32_e32 v3, 0x600, v64
	s_load_b128 s[4:7], s[6:7], 0x0
	v_lshlrev_b32_e32 v75, 3, v36
	v_lshlrev_b32_e32 v74, 3, v33
	;; [unrolled: 1-line block ×3, first 2 shown]
	v_cmp_gt_u16_e32 vcc_lo, 0x6c, v0
	s_load_b64 s[2:3], s[0:1], 0x38
	s_wait_loadcnt 0x17
	v_lshrrev_b32_e32 v66, 16, v63
	s_wait_loadcnt 0x16
	v_lshrrev_b32_e32 v61, 16, v59
	;; [unrolled: 2-line block ×6, first 2 shown]
	v_lshrrev_b32_e32 v52, 16, v50
	s_wait_loadcnt 0xe
	v_lshrrev_b32_e32 v51, 16, v49
	v_lshrrev_b32_e32 v48, 16, v47
	s_wait_loadcnt 0xd
	v_lshrrev_b32_e32 v46, 16, v45
	;; [unrolled: 3-line block ×3, first 2 shown]
	s_wait_loadcnt 0xb
	v_lshrrev_b32_e32 v21, 16, v8
	v_mul_f16_e32 v22, v66, v8
	s_wait_loadcnt 0xa
	v_lshrrev_b32_e32 v24, 16, v9
	v_mul_f16_e32 v25, v65, v9
	v_mul_f16_e32 v23, v66, v21
	v_fma_f16 v21, v63, v21, -v22
	s_delay_alu instid0(VALU_DEP_2)
	v_fmac_f16_e32 v23, v63, v8
	v_mul_f16_e32 v8, v65, v24
	v_fma_f16 v24, v62, v24, -v25
	s_wait_loadcnt 0x9
	v_lshrrev_b32_e32 v22, 16, v10
	v_mul_f16_e32 v25, v61, v10
	v_fmac_f16_e32 v8, v62, v9
	v_pack_b32_f16 v21, v23, v21
	s_wait_loadcnt 0x8
	v_lshrrev_b32_e32 v23, 16, v11
	v_mul_f16_e32 v9, v61, v22
	v_fma_f16 v22, v59, v22, -v25
	v_pack_b32_f16 v8, v8, v24
	v_mul_f16_e32 v27, v60, v11
	s_delay_alu instid0(VALU_DEP_4)
	v_fmac_f16_e32 v9, v59, v10
	v_mul_f16_e32 v10, v60, v23
	s_wait_loadcnt 0x7
	v_lshrrev_b32_e32 v24, 16, v13
	v_mul_f16_e32 v25, v56, v13
	ds_store_b32 v64, v8 offset:2808
	v_pack_b32_f16 v8, v9, v22
	v_fma_f16 v23, v57, v23, -v27
	v_mul_f16_e32 v9, v56, v24
	v_fmac_f16_e32 v10, v57, v11
	s_wait_loadcnt 0x6
	v_lshrrev_b32_e32 v22, 16, v14
	v_fma_f16 v11, v54, v24, -v25
	v_mul_f16_e32 v24, v55, v14
	v_fmac_f16_e32 v9, v54, v13
	s_wait_loadcnt 0x5
	v_lshrrev_b32_e32 v13, 16, v15
	ds_store_2addr_b32 v64, v21, v8 offset1:117
	v_pack_b32_f16 v8, v10, v23
	v_mul_f16_e32 v10, v55, v22
	v_mul_f16_e32 v21, v52, v15
	v_pack_b32_f16 v9, v9, v11
	v_mul_f16_e32 v11, v52, v13
	v_fma_f16 v22, v53, v22, -v24
	v_fmac_f16_e32 v10, v53, v14
	s_wait_loadcnt 0x4
	v_lshrrev_b32_e32 v14, 16, v16
	v_fma_f16 v13, v50, v13, -v21
	v_mul_f16_e32 v21, v51, v16
	v_fmac_f16_e32 v11, v50, v15
	s_wait_loadcnt 0x3
	v_lshrrev_b32_e32 v15, 16, v17
	v_pack_b32_f16 v10, v10, v22
	v_mul_f16_e32 v22, v51, v14
	v_fma_f16 v14, v49, v14, -v21
	v_mul_f16_e32 v21, v48, v17
	v_pack_b32_f16 v11, v11, v13
	v_mul_f16_e32 v13, v48, v15
	v_fmac_f16_e32 v22, v49, v16
	s_wait_loadcnt 0x2
	v_lshrrev_b32_e32 v16, 16, v18
	v_fma_f16 v15, v47, v15, -v21
	v_mul_f16_e32 v21, v46, v18
	v_fmac_f16_e32 v13, v47, v17
	s_wait_loadcnt 0x1
	v_lshrrev_b32_e32 v17, 16, v19
	s_wait_loadcnt 0x0
	v_lshrrev_b32_e32 v24, 16, v20
	v_mul_f16_e32 v23, v46, v16
	v_fma_f16 v16, v45, v16, -v21
	v_mul_f16_e32 v21, v44, v19
	v_mul_f16_e32 v25, v44, v17
	;; [unrolled: 1-line block ×4, first 2 shown]
	v_fmac_f16_e32 v23, v45, v18
	v_fma_f16 v17, v42, v17, -v21
	v_fmac_f16_e32 v25, v42, v19
	v_fma_f16 v18, v41, v24, -v27
	v_fmac_f16_e32 v28, v41, v20
	v_pack_b32_f16 v14, v22, v14
	v_pack_b32_f16 v13, v13, v15
	;; [unrolled: 1-line block ×5, first 2 shown]
	ds_store_2addr_b32 v2, v8, v10 offset0:51 offset1:168
	ds_store_2addr_b32 v4, v9, v11 offset0:106 offset1:223
	;; [unrolled: 1-line block ×4, first 2 shown]
	ds_store_b32 v64, v17 offset:5148
	global_wb scope:SCOPE_SE
	s_wait_dscnt 0x0
	s_wait_kmcnt 0x0
	s_barrier_signal -1
	s_barrier_wait -1
	global_inv scope:SCOPE_SE
	ds_load_2addr_b32 v[8:9], v64 offset1:117
	ds_load_2addr_b32 v[10:11], v5 offset0:62 offset1:179
	ds_load_2addr_b32 v[13:14], v4 offset0:106 offset1:223
	;; [unrolled: 1-line block ×5, first 2 shown]
	v_and_b32_e32 v27, 1, v58
	v_and_b32_e32 v28, 1, v68
	global_wb scope:SCOPE_SE
	s_wait_dscnt 0x0
	s_barrier_signal -1
	s_barrier_wait -1
	v_lshlrev_b32_e32 v30, 2, v27
	v_lshlrev_b32_e32 v31, 2, v28
	global_inv scope:SCOPE_SE
	v_pk_add_f16 v21, v8, v10 neg_lo:[0,1] neg_hi:[0,1]
	v_pk_add_f16 v10, v9, v11 neg_lo:[0,1] neg_hi:[0,1]
	;; [unrolled: 1-line block ×6, first 2 shown]
	v_pk_fma_f16 v20, v8, 2.0, v21 op_sel_hi:[1,0,1] neg_lo:[0,0,1] neg_hi:[0,0,1]
	v_pk_fma_f16 v9, v9, 2.0, v10 op_sel_hi:[1,0,1] neg_lo:[0,0,1] neg_hi:[0,0,1]
	;; [unrolled: 1-line block ×6, first 2 shown]
	ds_store_b64 v70, v[20:21]
	ds_store_b64 v75, v[9:10]
	;; [unrolled: 1-line block ×4, first 2 shown]
	ds_store_b64 v34, v[24:25] offset:3744
	ds_store_b64 v70, v[18:19] offset:4680
	v_and_b32_e32 v9, 1, v36
	global_wb scope:SCOPE_SE
	s_wait_dscnt 0x0
	s_barrier_signal -1
	s_barrier_wait -1
	global_inv scope:SCOPE_SE
	s_clause 0x3
	global_load_b32 v39, v30, s[10:11]
	global_load_b32 v40, v31, s[10:11]
	global_load_u16 v69, v32, s[10:11] offset:2
	global_load_u16 v72, v31, s[10:11] offset:2
	v_lshlrev_b32_e32 v8, 2, v9
	global_load_u16 v71, v32, s[10:11]
	v_lshlrev_b32_e32 v10, 1, v33
	v_and_or_b32 v11, 0xfc, v26, v27
	v_lshlrev_b32_e32 v15, 1, v35
	global_load_u16 v73, v8, s[10:11]
	v_lshlrev_b32_e32 v19, 1, v68
	v_and_or_b32 v30, 0x3fc, v10, v27
	v_lshlrev_b32_e32 v77, 2, v11
	v_and_or_b32 v11, 0x1fc, v110, v9
	ds_load_2addr_b32 v[9:10], v64 offset1:117
	ds_load_2addr_b32 v[13:14], v5 offset0:62 offset1:179
	v_and_or_b32 v29, 0x3fc, v15, v29
	ds_load_2addr_b32 v[15:16], v4 offset0:106 offset1:223
	ds_load_2addr_b32 v[17:18], v6 offset0:40 offset1:157
	v_and_or_b32 v28, 0x5fc, v19, v28
	ds_load_2addr_b32 v[19:20], v7 offset0:18 offset1:135
	ds_load_2addr_b32 v[21:22], v3 offset0:84 offset1:201
	v_and_or_b32 v27, 0x7fc, v111, v27
	v_lshlrev_b32_e32 v80, 2, v29
	v_lshlrev_b32_e32 v78, 2, v11
	;; [unrolled: 1-line block ×5, first 2 shown]
	v_and_b32_e32 v8, 3, v58
	v_and_b32_e32 v24, 3, v36
	;; [unrolled: 1-line block ×4, first 2 shown]
	global_wb scope:SCOPE_SE
	s_wait_loadcnt_dscnt 0x0
	v_lshlrev_b32_e32 v23, 3, v8
	v_lshlrev_b32_e32 v31, 3, v24
	v_lshrrev_b32_e32 v11, 16, v9
	v_lshrrev_b32_e32 v27, 16, v13
	;; [unrolled: 1-line block ×12, first 2 shown]
	v_lshlrev_b32_e32 v32, 3, v25
	s_barrier_signal -1
	s_barrier_wait -1
	global_inv scope:SCOPE_SE
	v_lshrrev_b32_e32 v83, 16, v39
	v_lshrrev_b32_e32 v84, 16, v40
	v_mul_f16_e32 v89, v67, v69
	v_mul_f16_e32 v90, v18, v69
	;; [unrolled: 1-line block ×8, first 2 shown]
	v_fma_f16 v18, v18, v71, -v89
	v_mul_f16_e32 v89, v17, v83
	v_mul_f16_e32 v92, v86, v72
	v_fmac_f16_e32 v90, v67, v71
	v_fmac_f16_e32 v91, v86, v40
	v_mul_f16_e32 v67, v85, v83
	v_mul_f16_e32 v86, v19, v83
	v_fma_f16 v13, v13, v39, -v93
	v_fmac_f16_e32 v95, v27, v39
	v_fma_f16 v14, v14, v73, -v94
	v_fmac_f16_e32 v97, v29, v73
	;; [unrolled: 2-line block ×3, first 2 shown]
	v_fma_f16 v20, v20, v40, -v92
	v_fma_f16 v19, v19, v39, -v67
	v_fmac_f16_e32 v86, v85, v39
	v_sub_f16_e32 v13, v9, v13
	v_sub_f16_e32 v37, v11, v95
	;; [unrolled: 1-line block ×12, first 2 shown]
	v_fma_f16 v9, v9, 2.0, -v13
	v_fma_f16 v11, v11, 2.0, -v37
	;; [unrolled: 1-line block ×4, first 2 shown]
	v_pack_b32_f16 v18, v18, v27
	v_fma_f16 v10, v10, 2.0, -v14
	v_fma_f16 v27, v28, 2.0, -v67
	;; [unrolled: 1-line block ×6, first 2 shown]
	v_pack_b32_f16 v20, v20, v29
	v_fma_f16 v21, v21, 2.0, -v19
	v_fma_f16 v29, v87, 2.0, -v86
	v_pack_b32_f16 v13, v13, v37
	v_pack_b32_f16 v9, v9, v11
	;; [unrolled: 1-line block ×10, first 2 shown]
	ds_store_2addr_b32 v77, v9, v13 offset1:2
	ds_store_2addr_b32 v78, v10, v14 offset1:2
	;; [unrolled: 1-line block ×6, first 2 shown]
	global_wb scope:SCOPE_SE
	s_wait_dscnt 0x0
	s_barrier_signal -1
	s_barrier_wait -1
	global_inv scope:SCOPE_SE
	global_load_b64 v[17:18], v23, s[10:11] offset:8
	v_lshlrev_b32_e32 v9, 3, v26
	s_clause 0x2
	global_load_b64 v[19:20], v31, s[10:11] offset:8
	global_load_b64 v[15:16], v32, s[10:11] offset:8
	;; [unrolled: 1-line block ×3, first 2 shown]
	v_lshrrev_b32_e32 v9, 2, v58
	v_lshrrev_b32_e32 v10, 2, v36
	;; [unrolled: 1-line block ×4, first 2 shown]
	v_add_co_u32 v37, s0, s8, v64
	v_mul_u32_u24_e32 v9, 12, v9
	v_mul_u32_u24_e32 v10, 12, v10
	;; [unrolled: 1-line block ×4, first 2 shown]
	s_wait_alu 0xf1ff
	v_add_co_ci_u32_e64 v38, null, s9, 0, s0
	v_or_b32_e32 v0, v9, v8
	v_or_b32_e32 v27, v10, v24
	ds_load_2addr_b32 v[8:9], v3 offset0:84 offset1:201
	ds_load_2addr_b32 v[10:11], v6 offset0:40 offset1:157
	ds_load_2addr_b32 v[23:24], v64 offset1:117
	v_or_b32_e32 v28, v22, v25
	v_or_b32_e32 v29, v21, v26
	ds_load_2addr_b32 v[25:26], v4 offset0:106 offset1:223
	ds_load_2addr_b32 v[5:6], v5 offset0:62 offset1:179
	;; [unrolled: 1-line block ×3, first 2 shown]
	v_lshlrev_b32_e32 v88, 2, v0
	v_lshlrev_b32_e32 v87, 2, v27
	;; [unrolled: 1-line block ×4, first 2 shown]
	global_wb scope:SCOPE_SE
	s_wait_loadcnt_dscnt 0x0
	s_barrier_signal -1
	s_barrier_wait -1
	global_inv scope:SCOPE_SE
	v_lshrrev_b32_e32 v0, 16, v8
	v_lshrrev_b32_e32 v7, 16, v10
	;; [unrolled: 1-line block ×20, first 2 shown]
	v_mul_f16_e32 v67, v8, v102
	v_mul_f16_e32 v89, v10, v101
	;; [unrolled: 1-line block ×16, first 2 shown]
	v_fmac_f16_e32 v67, v0, v17
	v_fmac_f16_e32 v89, v7, v18
	v_fma_f16 v0, v8, v17, -v90
	v_fma_f16 v7, v10, v18, -v91
	;; [unrolled: 1-line block ×4, first 2 shown]
	v_fmac_f16_e32 v93, v27, v19
	v_fmac_f16_e32 v103, v28, v20
	;; [unrolled: 1-line block ×4, first 2 shown]
	v_fma_f16 v5, v5, v15, -v106
	v_fma_f16 v10, v21, v16, -v107
	;; [unrolled: 1-line block ×4, first 2 shown]
	v_fmac_f16_e32 v114, v31, v13
	v_fmac_f16_e32 v116, v32, v14
	v_add_f16_e64 v21, v128, v67
	v_add_f16_e32 v22, v67, v89
	v_add_f16_e32 v27, v23, v0
	;; [unrolled: 1-line block ×3, first 2 shown]
	v_sub_f16_e32 v32, v67, v89
	v_add_f16_e32 v30, v8, v9
	v_add_f16_e32 v67, v93, v103
	;; [unrolled: 1-line block ×4, first 2 shown]
	v_sub_f16_e32 v90, v93, v103
	v_add_f16_e32 v91, v113, v104
	v_add_f16_e32 v92, v104, v105
	v_sub_f16_e32 v93, v104, v105
	v_add_f16_e32 v104, v5, v10
	v_sub_f16_e32 v0, v0, v7
	v_add_f16_e32 v107, v6, v11
	v_add_f16_e32 v108, v112, v114
	;; [unrolled: 1-line block ×3, first 2 shown]
	v_sub_f16_e32 v117, v114, v116
	v_add_f16_e32 v114, v21, v89
	v_fmac_f16_e64 v128, -0.5, v22
	v_add_f16_e32 v21, v27, v7
	v_fma_f16 v27, -0.5, v28, v23
	v_sub_f16_e32 v8, v8, v9
	v_fmac_f16_e32 v24, -0.5, v30
	v_fmac_f16_e32 v127, -0.5, v67
	v_add_f16_e32 v94, v25, v5
	v_sub_f16_e32 v5, v5, v10
	v_add_f16_e32 v28, v29, v9
	v_fmac_f16_e32 v113, -0.5, v92
	v_fma_f16 v29, -0.5, v104, v25
	v_add_f16_e32 v106, v26, v6
	v_sub_f16_e32 v6, v6, v11
	v_fmac_f16_e32 v26, -0.5, v107
	v_fmac_f16_e32 v112, -0.5, v115
	v_fmamk_f16 v22, v32, 0x3aee, v27
	v_fma_f16 v132, 0xbaee, v0, v128
	v_fmac_f16_e32 v27, 0xbaee, v32
	v_fmac_f16_e64 v128, 0x3aee, v0
	v_add_f16_e64 v129, v31, v103
	v_fmamk_f16 v23, v90, 0x3aee, v24
	v_fma_f16 v136, 0xbaee, v8, v127
	v_fmac_f16_e32 v24, 0xbaee, v90
	v_fmac_f16_e32 v127, 0x3aee, v8
	v_add_f16_e64 v131, v91, v105
	v_add_f16_e32 v31, v94, v10
	v_fmamk_f16 v32, v93, 0x3aee, v29
	v_fma_f16 v137, 0xbaee, v5, v113
	v_add_f16_e32 v30, v106, v11
	v_add_f16_e64 v130, v108, v116
	v_pack_b32_f16 v7, v21, v114
	v_fmac_f16_e32 v29, 0xbaee, v93
	v_fmac_f16_e32 v113, 0x3aee, v5
	v_fmamk_f16 v25, v117, 0x3aee, v26
	v_fma_f16 v135, 0xbaee, v6, v112
	v_fmac_f16_e32 v26, 0xbaee, v117
	v_fmac_f16_e32 v112, 0x3aee, v6
	v_pack_b32_f16 v6, v22, v132
	v_pack_b32_f16 v9, v27, v128
	;; [unrolled: 1-line block ×11, first 2 shown]
	ds_store_2addr_b32 v88, v7, v6 offset1:4
	ds_store_b32 v88, v9 offset:32
	ds_store_2addr_b32 v87, v0, v10 offset1:4
	ds_store_b32 v87, v11 offset:32
	;; [unrolled: 2-line block ×4, first 2 shown]
	global_wb scope:SCOPE_SE
	s_wait_dscnt 0x0
	s_barrier_signal -1
	s_barrier_wait -1
	global_inv scope:SCOPE_SE
	s_and_saveexec_b32 s0, vcc_lo
	s_cbranch_execz .LBB0_3
; %bb.2:
	v_add_nc_u32_e32 v0, 0x800, v64
	ds_load_2addr_b32 v[21:22], v64 offset1:108
	ds_load_2addr_b32 v[27:28], v4 offset0:88 offset1:196
	ds_load_2addr_b32 v[23:24], v3 offset0:48 offset1:156
	;; [unrolled: 1-line block ×5, first 2 shown]
	ds_load_b32 v138, v64 offset:5184
	s_wait_dscnt 0x6
	v_lshrrev_b32_e32 v114, 16, v21
	v_lshrrev_b32_e32 v132, 16, v22
	s_wait_dscnt 0x5
	v_lshrrev_b32_e32 v128, 16, v27
	v_lshrrev_b32_e32 v129, 16, v28
	;; [unrolled: 3-line block ×6, first 2 shown]
	s_wait_dscnt 0x0
	v_lshrrev_b32_e32 v139, 16, v138
.LBB0_3:
	s_wait_alu 0xfffe
	s_or_b32 exec_lo, exec_lo, s0
	v_and_b32_e32 v0, 0xff, v58
	s_delay_alu instid0(VALU_DEP_1) | instskip(NEXT) | instid1(VALU_DEP_1)
	v_mul_lo_u16 v0, 0xab, v0
	v_lshrrev_b16 v154, 11, v0
	s_delay_alu instid0(VALU_DEP_1) | instskip(NEXT) | instid1(VALU_DEP_1)
	v_mul_lo_u16 v0, v154, 12
	v_sub_nc_u16 v0, v58, v0
	s_delay_alu instid0(VALU_DEP_1) | instskip(NEXT) | instid1(VALU_DEP_1)
	v_and_b32_e32 v67, 0xff, v0
	v_mad_co_u64_u32 v[8:9], null, v67, 48, s[10:11]
	s_clause 0x2
	global_load_b128 v[4:7], v[8:9], off offset:40
	global_load_b128 v[0:3], v[8:9], off offset:56
	;; [unrolled: 1-line block ×3, first 2 shown]
	global_wb scope:SCOPE_SE
	s_wait_loadcnt 0x0
	s_barrier_signal -1
	s_barrier_wait -1
	global_inv scope:SCOPE_SE
	v_lshrrev_b32_e32 v107, 16, v4
	v_lshrrev_b32_e32 v105, 16, v5
	;; [unrolled: 1-line block ×5, first 2 shown]
	v_mul_f16_e64 v133, v132, v107
	v_mul_f16_e32 v126, v22, v107
	v_mul_f16_e64 v150, v139, v108
	v_mul_f16_e64 v115, v138, v108
	v_lshrrev_b32_e32 v103, 16, v6
	v_lshrrev_b32_e32 v93, 16, v7
	v_lshrrev_b32_e32 v89, 16, v1
	v_lshrrev_b32_e32 v92, 16, v3
	v_lshrrev_b32_e32 v104, 16, v9
	v_mul_f16_e64 v140, v128, v105
	v_mul_f16_e32 v125, v27, v105
	v_mul_f16_e64 v143, v127, v91
	v_mul_f16_e64 v149, v112, v106
	v_mul_f16_e32 v118, v26, v106
	v_fma_f16 v134, v22, v4, -v133
	v_fmac_f16_e64 v126, v132, v4
	v_fma_f16 v22, v138, v11, -v150
	v_fmac_f16_e64 v115, v139, v11
	v_lshrrev_b32_e32 v90, 16, v2
	v_lshrrev_b32_e32 v94, 16, v8
	v_mul_f16_e64 v141, v129, v103
	v_mul_f16_e32 v124, v28, v103
	v_mul_f16_e64 v142, v136, v93
	v_mul_f16_e32 v122, v24, v91
	v_mul_f16_e64 v144, v131, v89
	v_mul_f16_e64 v146, v113, v92
	;; [unrolled: 1-line block ×3, first 2 shown]
	v_mul_f16_e32 v117, v25, v104
	v_fma_f16 v133, v27, v5, -v140
	v_fmac_f16_e64 v125, v128, v5
	v_fma_f16 v128, v24, v0, -v143
	v_fma_f16 v24, v26, v10, -v149
	v_fmac_f16_e32 v118, v112, v10
	v_sub_f16_e64 v151, v134, v22
	v_sub_f16_e64 v171, v126, v115
	v_mul_f16_e32 v123, v23, v93
	v_mul_f16_e32 v120, v32, v90
	v_mul_f16_e64 v147, v130, v94
	v_mul_f16_e32 v116, v30, v94
	v_fma_f16 v132, v28, v6, -v141
	v_fmac_f16_e64 v124, v129, v6
	v_fma_f16 v129, v23, v7, -v142
	v_fmac_f16_e32 v122, v127, v0
	v_fma_f16 v127, v31, v1, -v144
	v_fma_f16 v28, v29, v3, -v146
	;; [unrolled: 1-line block ×3, first 2 shown]
	v_fmac_f16_e64 v117, v135, v9
	v_add_f16_e64 v146, v134, v22
	v_add_f16_e64 v179, v126, v115
	v_sub_f16_e64 v153, v133, v24
	v_sub_f16_e64 v172, v125, v118
	v_mul_f16_e64 v143, 0xb770, v171
	v_mul_f16_e64 v144, 0xb770, v151
	;; [unrolled: 1-line block ×3, first 2 shown]
	v_mul_f16_e32 v119, v29, v92
	v_fmac_f16_e64 v123, v136, v7
	v_fmac_f16_e64 v120, v137, v2
	v_fma_f16 v27, v30, v8, -v147
	v_fmac_f16_e64 v116, v130, v8
	v_add_f16_e64 v147, v133, v24
	v_add_f16_e64 v181, v125, v118
	v_sub_f16_e64 v149, v132, v23
	v_sub_f16_e64 v174, v124, v117
	v_mul_f16_e64 v137, 0xba95, v172
	v_mul_f16_e64 v142, 0xba95, v153
	v_fma_f16 v29, 0x3b15, v146, v143
	v_fma_f16 v112, v179, 0x3b15, -v144
	v_mul_f16_e32 v121, v31, v89
	v_fmac_f16_e32 v119, v113, v3
	v_add_f16_e64 v148, v132, v23
	v_add_f16_e64 v182, v124, v117
	v_sub_f16_e64 v150, v129, v27
	v_sub_f16_e64 v176, v123, v116
	v_mul_f16_e64 v30, 0xbbf1, v174
	v_mul_f16_e64 v138, 0xbbf1, v149
	v_fma_f16 v113, 0x388b, v147, v137
	v_fma_f16 v130, v181, 0x388b, -v142
	v_add_f16_e32 v29, v21, v29
	v_add_f16_e32 v112, v114, v112
	v_fmac_f16_e64 v121, v131, v1
	v_fma_f16 v31, v32, v2, -v145
	v_add_f16_e64 v136, v129, v27
	v_add_f16_e64 v178, v123, v116
	v_sub_f16_e64 v152, v128, v28
	v_sub_f16_e64 v173, v122, v119
	v_mul_f16_e64 v26, 0xbb7b, v176
	v_mul_f16_e64 v32, 0xbb7b, v150
	v_fma_f16 v131, 0x2fb7, v148, v30
	v_fma_f16 v139, v182, 0x2fb7, -v138
	v_add_f16_e32 v113, v113, v29
	v_add_f16_e64 v112, v130, v112
	v_add_f16_e64 v140, v128, v28
	;; [unrolled: 1-line block ×3, first 2 shown]
	v_sub_f16_e64 v145, v127, v31
	v_sub_f16_e64 v175, v121, v120
	v_mul_f16_e64 v25, 0xb94e, v173
	v_mul_f16_e64 v135, 0xb94e, v152
	v_fma_f16 v130, 0xb5ac, v136, v26
	v_fma_f16 v155, v178, 0xb5ac, -v32
	v_add_f16_e64 v113, v131, v113
	v_add_f16_e64 v112, v139, v112
	;; [unrolled: 1-line block ×4, first 2 shown]
	v_mul_f16_e64 v29, 0xb3a8, v175
	v_mul_f16_e64 v139, 0xb3a8, v145
	v_fma_f16 v131, 0xb9fd, v140, v25
	v_fma_f16 v156, v180, 0xb9fd, -v135
	v_add_f16_e64 v113, v130, v113
	v_add_f16_e64 v112, v155, v112
	v_fma_f16 v155, 0xbbc4, v141, v29
	v_fma_f16 v157, v177, 0xbbc4, -v139
	v_lshlrev_b32_e32 v130, 3, v68
	v_add_f16_e64 v113, v131, v113
	v_add_f16_e64 v156, v156, v112
	v_lshlrev_b32_e32 v131, 2, v111
	v_and_b32_e32 v68, 0xffff, v154
	s_delay_alu instid0(VALU_DEP_4) | instskip(NEXT) | instid1(VALU_DEP_4)
	v_add_f16_e64 v112, v155, v113
	v_add_f16_e64 v113, v157, v156
	s_and_saveexec_b32 s0, vcc_lo
	s_cbranch_execz .LBB0_5
; %bb.4:
	v_mul_f16_e64 v183, 0x388b, v179
	v_mul_f16_e64 v184, 0xb5ac, v181
	;; [unrolled: 1-line block ×5, first 2 shown]
	v_fma_f16 v154, 0x3a95, v151, v183
	v_fma_f16 v164, 0x3b7b, v153, v184
	v_fma_f16 v165, 0x33a8, v149, v185
	v_fma_f16 v166, 0x388b, v146, v186
	v_mul_f16_e64 v188, 0xbb7b, v172
	v_add_f16_e64 v161, v114, v154
	v_mul_f16_e64 v167, 0x2fb7, v180
	v_mul_f16_e64 v189, 0xb3a8, v174
	v_add_f16_e64 v166, v21, v166
	v_fma_f16 v168, 0xb5ac, v147, v188
	v_add_f16_e64 v164, v164, v161
	v_fma_f16 v170, 0xbbf1, v152, v167
	v_fma_f16 v190, 0xbbc4, v148, v189
	v_mul_f16_e64 v169, 0x394e, v176
	v_add_f16_e64 v166, v168, v166
	v_add_f16_e64 v164, v165, v164
	v_fma_f16 v165, 0xb94e, v150, v187
	v_mul_f16_e64 v168, 0x3b15, v177
	v_mul_f16_e64 v191, 0x2fb7, v179
	v_add_f16_e64 v166, v190, v166
	v_mul_f16_e64 v190, 0x3bf1, v173
	v_add_f16_e64 v164, v165, v164
	v_fma_f16 v192, 0xb770, v145, v168
	v_fma_f16 v193, 0x3bf1, v151, v191
	v_mul_f16_e64 v194, 0xbbc4, v181
	v_mul_f16_e64 v195, 0xb5ac, v182
	v_add_f16_e64 v164, v170, v164
	v_fma_f16 v170, 0xb9fd, v136, v169
	v_mul_f16_e64 v201, 0x388b, v180
	v_mul_f16_e64 v197, 0xbbf1, v171
	;; [unrolled: 1-line block ×3, first 2 shown]
	v_add_f16_e64 v164, v192, v164
	v_add_f16_e64 v166, v170, v166
	v_fma_f16 v170, 0x2fb7, v140, v190
	v_add_f16_e64 v192, v114, v193
	v_fma_f16 v193, 0x33a8, v153, v194
	v_fma_f16 v199, 0x2fb7, v146, v197
	v_mul_f16_e64 v200, 0xb3a8, v172
	v_add_f16_e64 v166, v170, v166
	v_mul_f16_e64 v204, 0xb5ac, v179
	v_add_f16_e64 v170, v193, v192
	v_fma_f16 v192, 0xbb7b, v149, v195
	v_mul_f16_e64 v193, 0x3b15, v178
	v_fma_f16 v198, 0x3b15, v141, v196
	v_add_f16_e64 v199, v21, v199
	v_fma_f16 v202, 0xbbc4, v147, v200
	v_add_f16_e64 v170, v192, v170
	v_fma_f16 v192, 0xb770, v150, v193
	v_mul_f16_e64 v203, 0x3b7b, v174
	v_fma_f16 v207, 0x3b7b, v151, v204
	v_mul_f16_e64 v208, 0xb9fd, v181
	v_add_f16_e64 v166, v198, v166
	v_add_f16_e64 v170, v192, v170
	v_fma_f16 v192, 0x3a95, v152, v201
	v_add_f16_e64 v198, v202, v199
	v_fma_f16 v199, 0xb5ac, v148, v203
	v_mul_f16_e64 v202, 0x3770, v176
	v_mul_f16_e64 v209, 0x3b15, v182
	v_add_f16_e64 v170, v192, v170
	v_mul_f16_e64 v192, 0xb9fd, v177
	v_add_f16_e64 v198, v199, v198
	v_fma_f16 v199, 0x3b15, v136, v202
	v_mul_f16_e64 v205, 0xba95, v173
	v_mul_f16_e64 v211, 0x2fb7, v178
	v_fma_f16 v206, 0x394e, v145, v192
	v_mul_f16_e64 v210, 0xbb7b, v171
	v_add_f16_e64 v198, v199, v198
	v_fma_f16 v199, 0x388b, v140, v205
	v_mul_f16_e64 v215, 0xbbc4, v180
	v_add_f16_e64 v170, v206, v170
	v_add_f16_e64 v206, v114, v207
	v_fma_f16 v207, 0xb94e, v153, v208
	v_add_f16_e64 v198, v199, v198
	v_mul_f16_e64 v199, 0xb94e, v175
	v_fma_f16 v213, 0xb5ac, v146, v210
	v_mul_f16_e64 v214, 0x394e, v172
	v_add_f16_e64 v206, v207, v206
	v_fma_f16 v207, 0xb770, v149, v209
	v_fma_f16 v212, 0xb9fd, v141, v199
	v_add_f16_e64 v213, v21, v213
	v_fma_f16 v216, 0xb9fd, v147, v214
	v_mul_f16_e64 v217, 0x3770, v174
	v_add_f16_e64 v206, v207, v206
	v_fma_f16 v207, 0x3bf1, v150, v211
	v_mul_f16_e64 v218, 0xb9fd, v179
	v_add_f16_e64 v198, v212, v198
	v_add_f16_e64 v212, v216, v213
	v_fma_f16 v213, 0x3b15, v148, v217
	v_add_f16_e64 v206, v207, v206
	v_fma_f16 v207, 0xb3a8, v152, v215
	v_mul_f16_e64 v216, 0xbbf1, v176
	v_fma_f16 v221, 0x394e, v151, v218
	v_mul_f16_e64 v222, 0x2fb7, v181
	v_add_f16_e64 v212, v213, v212
	v_add_f16_e64 v206, v207, v206
	v_mul_f16_e64 v207, 0x388b, v177
	v_fma_f16 v213, 0x2fb7, v136, v216
	v_mul_f16_e64 v219, 0x33a8, v173
	v_mul_f16_e64 v223, 0x388b, v182
	;; [unrolled: 1-line block ×3, first 2 shown]
	v_fma_f16 v220, 0xba95, v145, v207
	v_add_f16_e64 v212, v213, v212
	v_fma_f16 v213, 0xbbc4, v140, v219
	v_mul_f16_e64 v225, 0xbbc4, v178
	v_fma_f16 v227, 0xb9fd, v146, v224
	v_add_f16_e64 v206, v220, v206
	v_add_f16_e64 v220, v114, v221
	v_fma_f16 v221, 0xbbf1, v153, v222
	v_add_f16_e64 v212, v213, v212
	v_mul_f16_e64 v213, 0x3a95, v175
	v_mul_f16_e64 v228, 0x3bf1, v172
	;; [unrolled: 1-line block ×3, first 2 shown]
	v_add_f16_e64 v220, v221, v220
	v_fma_f16 v221, 0x3a95, v149, v223
	v_fma_f16 v226, 0x388b, v141, v213
	v_add_f16_e64 v227, v21, v227
	v_fma_f16 v230, 0x2fb7, v147, v228
	v_mul_f16_e64 v231, 0xba95, v174
	v_add_f16_e64 v220, v221, v220
	v_fma_f16 v221, 0xb3a8, v150, v225
	v_mul_f16_e64 v163, 0x3b15, v179
	v_add_f16_e64 v212, v226, v212
	v_add_f16_e64 v226, v230, v227
	v_fma_f16 v227, 0x388b, v148, v231
	v_add_f16_e64 v220, v221, v220
	v_fma_f16 v221, 0xb770, v152, v229
	v_mul_f16_e64 v230, 0x33a8, v176
	v_mul_f16_e64 v179, 0xbbc4, v179
	;; [unrolled: 1-line block ×3, first 2 shown]
	v_add_f16_e64 v226, v227, v226
	v_add_f16_e64 v220, v221, v220
	v_mul_f16_e64 v221, 0xb5ac, v177
	v_fma_f16 v227, 0xbbc4, v136, v230
	v_mul_f16_e64 v232, 0x3770, v173
	v_fma_f16 v234, 0x33a8, v151, v179
	;; [unrolled: 2-line block ×3, first 2 shown]
	v_fmac_f16_e64 v179, 0xb3a8, v151
	v_mul_f16_e64 v160, 0x2fb7, v182
	v_add_f16_e64 v226, v227, v226
	v_fma_f16 v227, 0x3b15, v140, v232
	v_add_f16_e64 v220, v233, v220
	v_add_f16_e64 v233, v114, v234
	v_fma_f16 v234, 0xb770, v153, v181
	v_mul_f16_e64 v182, 0xb9fd, v182
	v_mul_f16_e64 v171, 0xb3a8, v171
	v_add_f16_e64 v179, v114, v179
	v_fmac_f16_e64 v181, 0x3770, v153
	v_mul_f16_e64 v158, 0xb5ac, v178
	v_add_f16_e64 v226, v227, v226
	v_mul_f16_e64 v227, 0xbb7b, v175
	v_add_f16_e64 v233, v234, v233
	v_fma_f16 v234, 0x394e, v149, v182
	v_mul_f16_e64 v178, 0x388b, v178
	v_fma_f16 v236, 0xbbc4, v146, v171
	v_mul_f16_e64 v172, 0x3770, v172
	v_add_f16_e64 v179, v181, v179
	v_fmac_f16_e64 v182, 0xb94e, v149
	v_mul_f16_e64 v157, 0xb9fd, v180
	v_fma_f16 v235, 0xb5ac, v141, v227
	v_add_f16_e64 v233, v234, v233
	v_fma_f16 v234, 0xba95, v150, v178
	v_mul_f16_e64 v180, 0xb5ac, v180
	v_add_f16_e64 v236, v21, v236
	v_fma_f16 v237, 0x3b15, v147, v172
	v_mul_f16_e64 v174, 0xb94e, v174
	v_fma_f16 v171, v146, 0xbbc4, -v171
	v_add_f16_e64 v179, v182, v179
	v_fmac_f16_e64 v178, 0x3a95, v150
	v_mul_f16_e64 v165, 0xbbc4, v177
	v_add_f16_e64 v233, v234, v233
	v_fma_f16 v234, 0x3b7b, v152, v180
	v_add_f16_e64 v226, v235, v226
	v_add_f16_e64 v235, v237, v236
	v_fma_f16 v236, 0xb9fd, v148, v174
	v_mul_f16_e64 v177, 0x2fb7, v177
	v_add_f16_e64 v171, v21, v171
	v_fma_f16 v172, v147, 0x3b15, -v172
	v_fmac_f16_e64 v218, 0xb94e, v151
	v_add_f16_e64 v178, v178, v179
	v_fmac_f16_e64 v180, 0xbb7b, v152
	v_mul_f16_e64 v176, 0x3a95, v176
	v_add_f16_e64 v233, v234, v233
	v_add_f16_e64 v234, v236, v235
	v_fma_f16 v236, 0xbbf1, v145, v177
	v_add_f16_e64 v171, v172, v171
	v_fma_f16 v172, v148, 0xb9fd, -v174
	v_add_f16_e64 v174, v114, v218
	v_fmac_f16_e64 v222, 0x3bf1, v153
	v_add_f16_e64 v178, v180, v178
	v_fmac_f16_e64 v177, 0x3bf1, v145
	v_fma_f16 v235, 0x388b, v136, v176
	v_mul_f16_e64 v173, 0xbb7b, v173
	v_add_f16_e64 v171, v172, v171
	v_fma_f16 v172, v136, 0x388b, -v176
	v_add_f16_e64 v174, v222, v174
	v_fmac_f16_e64 v223, 0xba95, v149
	v_add_f16_e64 v176, v177, v178
	v_fma_f16 v177, v146, 0xb9fd, -v224
	v_add_f16_e64 v234, v235, v234
	v_fma_f16 v235, 0xb5ac, v140, v173
	v_add_f16_e64 v171, v172, v171
	v_fma_f16 v172, v140, 0xb5ac, -v173
	v_add_f16_e64 v173, v223, v174
	v_fmac_f16_e64 v225, 0x33a8, v150
	v_add_f16_e64 v174, v21, v177
	v_fma_f16 v177, v147, 0x2fb7, -v228
	v_fmac_f16_e64 v204, 0xbb7b, v151
	v_add_f16_e64 v171, v172, v171
	v_add_f16_e64 v172, v225, v173
	v_fmac_f16_e64 v208, 0x394e, v153
	v_add_f16_e64 v173, v177, v174
	v_fma_f16 v174, v148, 0x388b, -v231
	v_add_f16_e64 v177, v114, v204
	v_fmac_f16_e64 v209, 0x3770, v149
	v_fma_f16 v178, v146, 0xb5ac, -v210
	v_add_f16_e64 v134, v21, v134
	v_add_f16_e64 v173, v174, v173
	v_fma_f16 v174, v136, 0xbbc4, -v230
	v_add_f16_e64 v177, v208, v177
	v_add_f16_e32 v126, v114, v126
	v_fmac_f16_e64 v211, 0xbbf1, v150
	v_add_f16_e64 v178, v21, v178
	v_add_f16_e64 v173, v174, v173
	v_fma_f16 v174, v140, 0x3b15, -v232
	v_add_f16_e64 v177, v209, v177
	v_fma_f16 v179, v147, 0xb9fd, -v214
	v_add_f16_e64 v133, v134, v133
	v_add_f16_e32 v125, v126, v125
	v_add_f16_e64 v173, v174, v173
	v_add_f16_e64 v174, v211, v177
	;; [unrolled: 1-line block ×3, first 2 shown]
	v_fma_f16 v178, v148, 0x3b15, -v217
	v_add_f16_e64 v132, v133, v132
	v_add_f16_e32 v124, v125, v124
	v_mul_f16_e64 v111, 0x3b15, v146
	v_fmac_f16_e64 v191, 0xbbf1, v151
	v_add_f16_e64 v177, v178, v177
	v_fma_f16 v178, v136, 0x2fb7, -v216
	v_add_f16_e64 v129, v132, v129
	v_add_f16_e32 v123, v124, v123
	v_add_f16_e64 v179, v114, v191
	v_fmac_f16_e64 v194, 0xb3a8, v153
	v_add_f16_e64 v177, v178, v177
	v_fma_f16 v178, v146, 0x2fb7, -v197
	v_fma_f16 v146, v146, 0x388b, -v186
	v_sub_f16_e64 v111, v111, v143
	v_add_f16_e64 v128, v129, v128
	v_add_f16_e32 v122, v123, v122
	v_mul_f16_e64 v159, 0x388b, v147
	v_add_f16_e64 v179, v194, v179
	v_add_f16_e64 v178, v21, v178
	v_fma_f16 v194, v147, 0xbbc4, -v200
	v_fmac_f16_e64 v183, 0xba95, v151
	v_add_f16_e64 v146, v21, v146
	v_add_f16_e64 v132, v144, v163
	v_add_f16_e32 v21, v21, v111
	v_add_f16_e64 v111, v128, v127
	v_add_f16_e32 v121, v122, v121
	v_mul_f16_e64 v156, 0x2fb7, v148
	v_add_f16_e64 v151, v194, v178
	v_fma_f16 v178, v148, 0xb5ac, -v203
	v_add_f16_e64 v183, v114, v183
	v_fmac_f16_e64 v184, 0xbb7b, v153
	v_fma_f16 v147, v147, 0xb5ac, -v188
	v_add_f16_e64 v114, v114, v132
	v_add_f16_e64 v123, v142, v162
	v_sub_f16_e64 v127, v159, v137
	v_add_f16_e32 v31, v111, v31
	v_add_f16_e32 v111, v121, v120
	v_mul_f16_e64 v155, 0xb5ac, v136
	v_fmac_f16_e64 v195, 0x3b7b, v149
	v_add_f16_e64 v151, v178, v151
	v_fma_f16 v153, v136, 0x3b15, -v202
	v_add_f16_e64 v178, v184, v183
	v_fmac_f16_e64 v185, 0xb3a8, v149
	v_add_f16_e64 v146, v147, v146
	v_fma_f16 v147, v148, 0xbbc4, -v189
	v_add_f16_e32 v114, v123, v114
	v_add_f16_e64 v122, v138, v160
	v_add_f16_e32 v21, v127, v21
	v_sub_f16_e64 v30, v156, v30
	v_add_f16_e32 v28, v31, v28
	v_add_f16_e64 v31, v32, v158
	v_add_f16_e32 v32, v111, v119
	v_mul_f16_e64 v154, 0xb9fd, v140
	v_add_f16_e64 v179, v195, v179
	v_fmac_f16_e64 v193, 0x3770, v150
	v_add_f16_e64 v149, v153, v151
	v_fma_f16 v151, v140, 0x388b, -v205
	v_add_f16_e64 v153, v185, v178
	v_fmac_f16_e64 v187, 0x394e, v150
	v_add_f16_e64 v146, v147, v146
	v_fma_f16 v136, v136, 0xb9fd, -v169
	v_add_f16_e32 v114, v122, v114
	v_add_f16_e32 v21, v30, v21
	v_sub_f16_e64 v26, v155, v26
	v_add_f16_e32 v27, v28, v27
	v_add_f16_e32 v30, v32, v116
	v_mul_f16_e64 v161, 0xbbc4, v141
	v_add_f16_e64 v179, v193, v179
	v_fmac_f16_e64 v201, 0xba95, v152
	v_add_f16_e64 v148, v151, v149
	v_add_f16_e64 v149, v187, v153
	v_fmac_f16_e64 v167, 0x3bf1, v152
	v_add_f16_e64 v126, v136, v146
	v_fma_f16 v134, v140, 0x2fb7, -v190
	v_add_f16_e32 v28, v31, v114
	v_add_f16_e64 v31, v135, v157
	v_add_f16_e32 v21, v26, v21
	v_add_f16_e32 v23, v27, v23
	v_sub_f16_e64 v25, v154, v25
	v_add_f16_e32 v26, v30, v117
	v_fmac_f16_e64 v229, 0x3770, v152
	v_fmac_f16_e64 v215, 0x33a8, v152
	v_fma_f16 v191, v140, 0xbbc4, -v219
	v_add_f16_e64 v179, v201, v179
	v_fmac_f16_e64 v192, 0xb94e, v145
	v_add_f16_e64 v147, v167, v149
	v_fmac_f16_e64 v168, 0x3770, v145
	v_fma_f16 v133, v141, 0xb9fd, -v199
	v_add_f16_e64 v126, v134, v126
	v_fma_f16 v124, v141, 0x3b15, -v196
	v_add_f16_e32 v27, v31, v28
	v_add_f16_e64 v28, v139, v165
	v_add_f16_e32 v23, v23, v24
	v_add_f16_e32 v21, v25, v21
	;; [unrolled: 1-line block ×3, first 2 shown]
	v_sub_f16_e64 v25, v161, v29
	v_mul_f16_e64 v175, 0x3bf1, v175
	v_add_f16_e64 v172, v229, v172
	v_fmac_f16_e64 v221, 0xbb7b, v145
	v_fma_f16 v180, v141, 0xb5ac, -v227
	v_add_f16_e64 v174, v215, v174
	v_fmac_f16_e64 v207, 0x3a95, v145
	v_add_f16_e64 v177, v191, v177
	v_fma_f16 v191, v141, 0x388b, -v213
	v_add_f16_e64 v150, v192, v179
	v_add_f16_e64 v125, v168, v147
	v_add_f16_e32 v26, v28, v27
	v_add_f16_e32 v22, v23, v22
	v_mul_u32_u24_e32 v23, 0x9c, v68
	v_add_f16_e32 v24, v24, v115
	v_add_f16_e32 v21, v25, v21
	;; [unrolled: 1-line block ×3, first 2 shown]
	v_add_f16_e64 v27, v133, v148
	v_add_f16_e64 v181, v236, v233
	;; [unrolled: 1-line block ×3, first 2 shown]
	v_fma_f16 v234, 0x2fb7, v141, v175
	v_fma_f16 v175, v141, 0x2fb7, -v175
	v_add_f16_e64 v172, v221, v172
	v_add_f16_e64 v174, v207, v174
	v_add_lshl_u32 v23, v23, v67, 2
	v_pack_b32_f16 v22, v22, v24
	v_pack_b32_f16 v21, v21, v26
	;; [unrolled: 1-line block ×4, first 2 shown]
	v_add_f16_e64 v26, v191, v177
	v_add_f16_e64 v27, v180, v173
	;; [unrolled: 1-line block ×4, first 2 shown]
	ds_store_2addr_b32 v23, v22, v21 offset1:12
	ds_store_2addr_b32 v23, v24, v25 offset0:24 offset1:36
	v_pack_b32_f16 v21, v26, v174
	v_pack_b32_f16 v22, v27, v172
	v_pack_b32_f16 v25, v182, v181
	v_pack_b32_f16 v24, v28, v176
	v_pack_b32_f16 v26, v226, v220
	v_pack_b32_f16 v27, v212, v206
	v_pack_b32_f16 v28, v198, v170
	v_pack_b32_f16 v29, v166, v164
	v_perm_b32 v30, v113, v112, 0x5040100
	ds_store_2addr_b32 v23, v21, v22 offset0:48 offset1:60
	ds_store_2addr_b32 v23, v24, v25 offset0:72 offset1:84
	;; [unrolled: 1-line block ×4, first 2 shown]
	ds_store_b32 v23, v30 offset:576
.LBB0_5:
	s_wait_alu 0xfffe
	s_or_b32 exec_lo, exec_lo, s0
	v_add_co_u32 v23, s0, 0xffffffd9, v58
	s_wait_alu 0xf1ff
	v_add_co_ci_u32_e64 v24, null, 0, -1, s0
	v_lshrrev_b16 v25, 2, v33
	v_cmp_gt_u16_e64 s0, 39, v58
	global_wb scope:SCOPE_SE
	s_wait_dscnt 0x0
	s_barrier_signal -1
	s_barrier_wait -1
	global_inv scope:SCOPE_SE
	s_wait_alu 0xf1ff
	v_cndmask_b32_e64 v30, v24, v109, s0
	v_and_b32_e32 v24, 0xffff, v25
	v_lshrrev_b16 v25, 2, v35
	v_cndmask_b32_e64 v29, v23, v36, s0
	global_load_b64 v[21:22], v34, s[10:11] offset:616
	v_add_nc_u32_e32 v132, 0x600, v64
	v_mul_u32_u24_e32 v26, 0xd21, v24
	v_and_b32_e32 v25, 0xffff, v25
	v_lshlrev_b64_e32 v[23:24], 3, v[29:30]
	v_add_nc_u32_e32 v136, 0xe00, v64
	v_lshlrev_b32_e32 v117, 2, v110
	v_lshrrev_b32_e32 v32, 17, v26
	v_mul_u32_u24_e32 v25, 0xd21, v25
	v_add_nc_u32_e32 v133, 0x200, v64
	v_add_co_u32 v23, s0, s10, v23
	s_wait_alu 0xf1ff
	v_add_co_ci_u32_e64 v24, s0, s11, v24, s0
	v_lshrrev_b32_e32 v25, 17, v25
	v_mul_lo_u16 v26, 0x9c, v32
	v_add_nc_u32_e32 v134, 0xa00, v64
	global_load_b64 v[27:28], v[23:24], off offset:616
	v_add_nc_u32_e32 v135, 0x1200, v64
	v_mul_lo_u16 v23, 0x9c, v25
	v_sub_nc_u16 v111, v33, v26
	v_lshlrev_b32_e32 v119, 3, v33
	s_delay_alu instid0(VALU_DEP_3) | instskip(NEXT) | instid1(VALU_DEP_3)
	v_sub_nc_u16 v116, v35, v23
	v_lshlrev_b16 v23, 3, v111
	v_mad_u16 v32, 0x1d4, v32, v111
	s_delay_alu instid0(VALU_DEP_3) | instskip(NEXT) | instid1(VALU_DEP_3)
	v_lshlrev_b16 v24, 3, v116
	v_and_b32_e32 v23, 0xffff, v23
	v_and_b32_e32 v110, 0xffff, v116
	s_delay_alu instid0(VALU_DEP_4) | instskip(NEXT) | instid1(VALU_DEP_4)
	v_and_b32_e32 v32, 0xffff, v32
	v_and_b32_e32 v25, 0xffff, v24
	s_delay_alu instid0(VALU_DEP_4) | instskip(SKIP_2) | instid1(VALU_DEP_3)
	v_add_co_u32 v23, s0, s10, v23
	s_wait_alu 0xf1ff
	v_add_co_ci_u32_e64 v24, null, s11, 0, s0
	v_add_co_u32 v30, s0, s10, v25
	s_wait_alu 0xf1ff
	v_add_co_ci_u32_e64 v31, null, s11, 0, s0
	s_clause 0x1
	global_load_b64 v[25:26], v[23:24], off offset:616
	global_load_b64 v[23:24], v[30:31], off offset:616
	ds_load_2addr_b32 v[30:31], v64 offset1:117
	ds_load_2addr_b32 v[35:36], v132 offset0:84 offset1:201
	ds_load_2addr_b32 v[114:115], v136 offset0:40 offset1:157
	v_cmp_lt_u16_e64 s0, 38, v58
	ds_load_2addr_b32 v[137:138], v133 offset0:106 offset1:223
	ds_load_2addr_b32 v[139:140], v134 offset0:62 offset1:179
	;; [unrolled: 1-line block ×3, first 2 shown]
	global_wb scope:SCOPE_SE
	s_wait_loadcnt_dscnt 0x0
	s_barrier_signal -1
	s_barrier_wait -1
	s_wait_alu 0xf1ff
	v_cndmask_b32_e64 v109, 0, 0x1d4, s0
	global_inv scope:SCOPE_SE
	v_lshlrev_b32_e32 v110, 2, v110
	v_lshlrev_b32_e32 v111, 2, v32
	s_add_nc_u64 s[0:1], s[8:9], 0x15f0
	v_add_lshl_u32 v109, v29, v109, 2
	s_delay_alu instid0(VALU_DEP_3)
	v_add_nc_u32_e32 v32, 0xe00, v110
	v_lshrrev_b32_e32 v120, 16, v35
	v_lshrrev_b32_e32 v121, 16, v114
	;; [unrolled: 1-line block ×14, first 2 shown]
	s_delay_alu instid0(VALU_DEP_2) | instskip(SKIP_1) | instid1(VALU_DEP_3)
	v_mul_f16_e32 v123, v120, v116
	v_mul_f16_e32 v125, v35, v116
	;; [unrolled: 1-line block ×3, first 2 shown]
	v_mul_f16_e64 v129, v114, v118
	s_delay_alu instid0(VALU_DEP_4) | instskip(NEXT) | instid1(VALU_DEP_4)
	v_fma_f16 v35, v35, v21, -v123
	v_fmac_f16_e32 v125, v120, v21
	s_delay_alu instid0(VALU_DEP_4) | instskip(NEXT) | instid1(VALU_DEP_4)
	v_fma_f16 v114, v114, v22, -v127
	v_fmac_f16_e64 v129, v121, v22
	s_delay_alu instid0(VALU_DEP_4) | instskip(NEXT) | instid1(VALU_DEP_4)
	v_add_f16_e32 v120, v30, v35
	v_add_f16_e32 v123, v29, v125
	s_delay_alu instid0(VALU_DEP_4) | instskip(NEXT) | instid1(VALU_DEP_4)
	v_add_f16_e32 v121, v35, v114
	v_sub_f16_e64 v127, v125, v129
	v_add_f16_e64 v125, v125, v129
	v_sub_f16_e32 v35, v35, v114
	v_add_f16_e32 v114, v120, v114
	v_fma_f16 v30, -0.5, v121, v30
	v_add_f16_e64 v121, v123, v129
	v_fmac_f16_e32 v29, -0.5, v125
	v_lshrrev_b32_e32 v123, 16, v27
	v_lshrrev_b32_e32 v120, 16, v28
	v_fmamk_f16 v125, v127, 0x3aee, v30
	v_fmac_f16_e32 v30, 0xbaee, v127
	v_fmamk_f16 v127, v35, 0xbaee, v29
	v_fmac_f16_e32 v29, 0x3aee, v35
	v_pack_b32_f16 v35, v114, v121
	v_mul_f16_e32 v114, v122, v123
	v_mul_f16_e32 v121, v36, v123
	v_mul_f16_e64 v129, v124, v120
	v_mul_f16_e64 v147, v115, v120
	v_pack_b32_f16 v125, v125, v127
	v_pack_b32_f16 v29, v30, v29
	v_fma_f16 v30, v36, v27, -v114
	v_fmac_f16_e32 v121, v122, v27
	v_fma_f16 v36, v115, v28, -v129
	v_fmac_f16_e64 v147, v124, v28
	ds_store_2addr_b32 v64, v35, v125 offset1:156
	ds_store_b32 v64, v29 offset:1248
	v_add_f16_e32 v29, v31, v30
	v_add_f16_e32 v115, v33, v121
	;; [unrolled: 1-line block ×3, first 2 shown]
	v_sub_f16_e64 v114, v121, v147
	v_add_f16_e64 v121, v121, v147
	v_sub_f16_e32 v30, v30, v36
	v_add_f16_e32 v29, v29, v36
	v_fmac_f16_e32 v31, -0.5, v35
	v_add_f16_e64 v35, v115, v147
	v_fmac_f16_e32 v33, -0.5, v121
	v_lshrrev_b32_e32 v129, 16, v25
	v_lshrrev_b32_e32 v127, 16, v26
	;; [unrolled: 1-line block ×4, first 2 shown]
	v_fmamk_f16 v36, v114, 0x3aee, v31
	v_fmac_f16_e32 v31, 0xbaee, v114
	v_fmamk_f16 v114, v30, 0xbaee, v33
	v_fmac_f16_e32 v33, 0x3aee, v30
	v_pack_b32_f16 v29, v29, v35
	v_mul_f16_e64 v30, v128, v129
	v_mul_f16_e64 v35, v139, v129
	;; [unrolled: 1-line block ×8, first 2 shown]
	v_pack_b32_f16 v36, v36, v114
	v_pack_b32_f16 v31, v31, v33
	v_fma_f16 v30, v139, v25, -v30
	v_fmac_f16_e64 v35, v128, v25
	v_fma_f16 v33, v141, v26, -v115
	v_fmac_f16_e64 v121, v143, v26
	;; [unrolled: 2-line block ×4, first 2 shown]
	ds_store_2addr_b32 v109, v29, v36 offset1:156
	v_add_f16_e64 v29, v137, v30
	v_add_f16_e32 v36, v30, v33
	v_sub_f16_e32 v124, v35, v121
	v_add_f16_e64 v128, v126, v35
	v_add_f16_e32 v35, v35, v121
	v_add_f16_e64 v140, v114, v115
	v_add_f16_e64 v143, v147, v149
	v_sub_f16_e32 v30, v30, v33
	v_add_f16_e32 v29, v29, v33
	v_fma_f16 v33, -0.5, v36, v137
	v_fmac_f16_e32 v126, -0.5, v35
	v_add_f16_e64 v139, v138, v114
	v_sub_f16_e64 v141, v147, v149
	v_add_f16_e64 v142, v144, v147
	v_sub_f16_e32 v114, v114, v115
	v_fmac_f16_e64 v138, -0.5, v140
	v_fmac_f16_e64 v144, -0.5, v143
	v_add_f16_e64 v36, v128, v121
	v_fmamk_f16 v121, v124, 0x3aee, v33
	v_fmac_f16_e32 v33, 0xbaee, v124
	v_fmamk_f16 v124, v30, 0xbaee, v126
	v_fmac_f16_e32 v126, 0x3aee, v30
	v_add_f16_e64 v35, v139, v115
	v_add_f16_e64 v115, v142, v149
	v_fma_f16 v30, 0x3aee, v141, v138
	v_fma_f16 v128, 0xbaee, v114, v144
	v_fmac_f16_e64 v138, 0xbaee, v141
	v_fmac_f16_e64 v144, 0x3aee, v114
	v_pack_b32_f16 v29, v29, v36
	v_pack_b32_f16 v36, v121, v124
	;; [unrolled: 1-line block ×6, first 2 shown]
	ds_store_b32 v109, v31 offset:1248
	ds_store_2addr_b32 v111, v29, v36 offset1:156
	ds_store_b32 v111, v33 offset:1248
	ds_store_2addr_b32 v32, v35, v30 offset0:40 offset1:196
	ds_store_b32 v110, v114 offset:4992
	global_wb scope:SCOPE_SE
	s_wait_dscnt 0x0
	s_barrier_signal -1
	s_barrier_wait -1
	global_inv scope:SCOPE_SE
	s_clause 0x3
	global_load_b64 v[35:36], v34, s[10:11] offset:1864
	global_load_b64 v[33:34], v117, s[10:11] offset:1864
	;; [unrolled: 1-line block ×4, first 2 shown]
	ds_load_2addr_b32 v[138:139], v64 offset1:117
	ds_load_2addr_b32 v[140:141], v132 offset0:84 offset1:201
	ds_load_2addr_b32 v[142:143], v136 offset0:40 offset1:157
	;; [unrolled: 1-line block ×5, first 2 shown]
	v_add_nc_u32_e32 v137, 0x800, v64
	s_wait_dscnt 0x5
	v_lshrrev_b32_e32 v150, 16, v138
	s_wait_dscnt 0x4
	v_lshrrev_b32_e32 v151, 16, v140
	;; [unrolled: 2-line block ×3, first 2 shown]
	v_lshrrev_b32_e32 v154, 16, v141
	v_lshrrev_b32_e32 v155, 16, v143
	s_wait_dscnt 0x1
	v_lshrrev_b32_e32 v157, 16, v146
	s_wait_dscnt 0x0
	v_lshrrev_b32_e32 v158, 16, v148
	v_lshrrev_b32_e32 v160, 16, v147
	;; [unrolled: 1-line block ×6, first 2 shown]
	s_wait_loadcnt 0x3
	v_lshrrev_b32_e32 v128, 16, v35
	v_lshrrev_b32_e32 v126, 16, v36
	s_wait_loadcnt 0x2
	v_lshrrev_b32_e32 v124, 16, v33
	v_lshrrev_b32_e32 v121, 16, v34
	;; [unrolled: 3-line block ×4, first 2 shown]
	v_mul_f16_e64 v162, v151, v128
	v_mul_f16_e64 v163, v140, v128
	;; [unrolled: 1-line block ×16, first 2 shown]
	v_fma_f16 v140, v140, v35, -v162
	v_fmac_f16_e64 v163, v151, v35
	v_fma_f16 v142, v142, v36, -v164
	v_fmac_f16_e64 v165, v152, v36
	;; [unrolled: 2-line block ×8, first 2 shown]
	v_add_f16_e64 v152, v140, v142
	v_add_f16_e64 v157, v163, v165
	v_sub_f16_e64 v154, v163, v165
	v_add_f16_e64 v155, v150, v163
	v_add_f16_e64 v160, v141, v143
	;; [unrolled: 1-line block ×6, first 2 shown]
	v_sub_f16_e64 v140, v140, v142
	v_add_f16_e64 v158, v139, v141
	v_sub_f16_e64 v161, v167, v169
	v_add_f16_e64 v162, v153, v167
	v_add_f16_e64 v164, v144, v146
	v_sub_f16_e64 v167, v171, v173
	v_add_f16_e64 v168, v156, v171
	v_add_f16_e64 v171, v145, v147
	;; [unrolled: 1-line block ×3, first 2 shown]
	v_sub_f16_e64 v174, v175, v177
	v_add_f16_e64 v176, v159, v175
	v_add_f16_e64 v175, v175, v177
	v_fma_f16 v138, -0.5, v152, v138
	v_fmac_f16_e64 v150, -0.5, v157
	v_sub_f16_e64 v141, v141, v143
	v_fmac_f16_e64 v139, -0.5, v160
	v_fmac_f16_e64 v153, -0.5, v163
	v_sub_f16_e64 v146, v146, v148
	v_fma_f16 v144, -0.5, v166, v144
	v_fmac_f16_e64 v156, -0.5, v170
	v_sub_f16_e64 v147, v147, v149
	v_add_f16_e64 v142, v151, v142
	v_add_f16_e64 v151, v155, v165
	;; [unrolled: 1-line block ×6, first 2 shown]
	v_fmac_f16_e64 v145, -0.5, v172
	v_add_f16_e64 v157, v176, v177
	v_fmac_f16_e64 v159, -0.5, v175
	v_fma_f16 v158, 0x3aee, v154, v138
	v_fmac_f16_e64 v138, 0xbaee, v154
	v_fma_f16 v154, 0xbaee, v140, v150
	v_fmac_f16_e64 v150, 0x3aee, v140
	v_add_f16_e64 v152, v162, v169
	v_fma_f16 v140, 0x3aee, v161, v139
	v_fmac_f16_e64 v139, 0xbaee, v161
	v_fma_f16 v160, 0xbaee, v141, v153
	v_fmac_f16_e64 v153, 0x3aee, v141
	v_fma_f16 v141, 0x3aee, v167, v144
	v_fma_f16 v161, 0xbaee, v146, v156
	v_fmac_f16_e64 v144, 0xbaee, v167
	v_fmac_f16_e64 v156, 0x3aee, v146
	v_fma_f16 v146, 0x3aee, v174, v145
	v_fmac_f16_e64 v145, 0xbaee, v174
	v_fma_f16 v162, 0xbaee, v147, v159
	v_fmac_f16_e64 v159, 0x3aee, v147
	v_pack_b32_f16 v147, v148, v155
	v_pack_b32_f16 v148, v149, v157
	;; [unrolled: 1-line block ×12, first 2 shown]
	ds_store_b32 v64, v149 offset:1872
	ds_store_b32 v64, v138 offset:3744
	ds_store_2addr_b32 v64, v142, v143 offset1:117
	ds_store_b32 v64, v139 offset:4212
	ds_store_2addr_b32 v137, v140, v141 offset0:73 offset1:190
	ds_store_2addr_b32 v133, v147, v148 offset0:106 offset1:223
	ds_store_b32 v64, v146 offset:3276
	ds_store_2addr_b32 v135, v144, v145 offset0:18 offset1:135
	global_wb scope:SCOPE_SE
	s_wait_dscnt 0x0
	s_barrier_signal -1
	s_barrier_wait -1
	global_inv scope:SCOPE_SE
	global_load_b32 v138, v[37:38], off offset:5616
	v_lshlrev_b32_e32 v37, 2, v58
	s_clause 0xa
	global_load_b32 v146, v37, s[0:1] offset:468
	global_load_b32 v148, v37, s[0:1] offset:2808
	;; [unrolled: 1-line block ×11, first 2 shown]
	ds_load_2addr_b32 v[37:38], v64 offset1:117
	v_add_nc_u32_e32 v158, 0x400, v64
	s_wait_dscnt 0x0
	v_lshrrev_b32_e32 v139, 16, v37
	v_lshrrev_b32_e32 v147, 16, v38
	s_wait_loadcnt 0xa
	v_lshrrev_b32_e32 v159, 16, v146
	s_wait_loadcnt 0x9
	;; [unrolled: 2-line block ×4, first 2 shown]
	v_lshrrev_b32_e32 v162, 16, v150
	v_lshrrev_b32_e32 v140, 16, v138
	s_wait_loadcnt 0x6
	v_lshrrev_b32_e32 v163, 16, v151
	s_wait_loadcnt 0x5
	;; [unrolled: 2-line block ×3, first 2 shown]
	v_lshrrev_b32_e32 v167, 16, v154
	v_lshrrev_b32_e32 v165, 16, v153
	v_mul_f16_e64 v141, v139, v140
	v_mul_f16_e64 v140, v37, v140
	s_wait_loadcnt 0x2
	v_lshrrev_b32_e32 v168, 16, v155
	s_wait_loadcnt 0x1
	v_lshrrev_b32_e32 v169, 16, v156
	;; [unrolled: 2-line block ×3, first 2 shown]
	v_fma_f16 v37, v37, v138, -v141
	v_fmac_f16_e64 v140, v139, v138
	v_add_nc_u32_e32 v139, 0xc00, v64
	v_add_nc_u32_e32 v138, 0x1000, v64
	s_delay_alu instid0(VALU_DEP_3)
	v_pack_b32_f16 v37, v37, v140
	ds_store_b32 v64, v37
	v_mul_f16_e64 v37, v147, v159
	v_mul_f16_e64 v159, v38, v159
	ds_load_2addr_b32 v[142:143], v133 offset0:106 offset1:223
	ds_load_2addr_b32 v[140:141], v134 offset0:62 offset1:179
	;; [unrolled: 1-line block ×3, first 2 shown]
	v_fma_f16 v166, v38, v146, -v37
	ds_load_2addr_b32 v[37:38], v132 offset0:84 offset1:201
	v_fmac_f16_e64 v159, v147, v146
	ds_load_2addr_b32 v[146:147], v135 offset0:18 offset1:135
	v_pack_b32_f16 v159, v166, v159
	s_wait_dscnt 0x4
	v_lshrrev_b32_e32 v174, 16, v142
	s_wait_dscnt 0x3
	v_lshrrev_b32_e32 v172, 16, v141
	;; [unrolled: 2-line block ×3, first 2 shown]
	v_lshrrev_b32_e32 v166, 16, v140
	v_mul_f16_e64 v171, v140, v160
	v_lshrrev_b32_e32 v178, 16, v143
	s_wait_dscnt 0x1
	v_lshrrev_b32_e32 v182, 16, v37
	v_lshrrev_b32_e32 v180, 16, v145
	s_wait_dscnt 0x0
	v_lshrrev_b32_e32 v184, 16, v146
	v_lshrrev_b32_e32 v186, 16, v38
	;; [unrolled: 1-line block ×3, first 2 shown]
	v_mul_f16_e64 v175, v142, v162
	v_mul_f16_e64 v162, v174, v162
	;; [unrolled: 1-line block ×9, first 2 shown]
	v_fmac_f16_e64 v171, v166, v148
	v_mul_f16_e64 v164, v178, v164
	v_mul_f16_e64 v166, v182, v167
	;; [unrolled: 1-line block ×10, first 2 shown]
	v_fmac_f16_e64 v175, v174, v150
	v_fma_f16 v142, v142, v150, -v162
	v_fmac_f16_e64 v173, v172, v149
	v_fmac_f16_e64 v177, v176, v151
	v_fma_f16 v141, v141, v149, -v161
	v_fma_f16 v144, v144, v151, -v163
	v_fmac_f16_e64 v179, v178, v152
	v_fmac_f16_e64 v183, v182, v154
	v_fma_f16 v143, v143, v152, -v164
	;; [unrolled: 4-line block ×4, first 2 shown]
	v_fma_f16 v38, v38, v156, -v168
	v_fma_f16 v147, v147, v157, -v169
	v_pack_b32_f16 v142, v142, v175
	v_pack_b32_f16 v141, v141, v173
	;; [unrolled: 1-line block ×10, first 2 shown]
	ds_store_2addr_b32 v64, v159, v142 offset0:117 offset1:234
	ds_store_2addr_b32 v139, v141, v144 offset0:51 offset1:168
	;; [unrolled: 1-line block ×5, first 2 shown]
	ds_store_b32 v64, v147 offset:5148
	global_wb scope:SCOPE_SE
	s_wait_dscnt 0x0
	s_barrier_signal -1
	s_barrier_wait -1
	global_inv scope:SCOPE_SE
	ds_load_2addr_b32 v[37:38], v64 offset1:117
	ds_load_2addr_b32 v[140:141], v134 offset0:62 offset1:179
	ds_load_2addr_b32 v[142:143], v133 offset0:106 offset1:223
	;; [unrolled: 1-line block ×5, first 2 shown]
	global_wb scope:SCOPE_SE
	s_wait_dscnt 0x0
	s_barrier_signal -1
	s_barrier_wait -1
	global_inv scope:SCOPE_SE
	v_pk_add_f16 v150, v37, v140 neg_lo:[0,1] neg_hi:[0,1]
	v_pk_add_f16 v141, v38, v141 neg_lo:[0,1] neg_hi:[0,1]
	;; [unrolled: 1-line block ×6, first 2 shown]
	v_pk_fma_f16 v149, v37, 2.0, v150 op_sel_hi:[1,0,1] neg_lo:[0,0,1] neg_hi:[0,0,1]
	v_pk_fma_f16 v140, v38, 2.0, v141 op_sel_hi:[1,0,1] neg_lo:[0,0,1] neg_hi:[0,0,1]
	;; [unrolled: 1-line block ×6, first 2 shown]
	ds_store_b64 v70, v[149:150]
	ds_store_b64 v75, v[140:141]
	;; [unrolled: 1-line block ×6, first 2 shown]
	global_wb scope:SCOPE_SE
	s_wait_dscnt 0x0
	s_barrier_signal -1
	s_barrier_wait -1
	global_inv scope:SCOPE_SE
	ds_load_2addr_b32 v[37:38], v64 offset1:117
	ds_load_2addr_b32 v[74:75], v134 offset0:62 offset1:179
	ds_load_2addr_b32 v[130:131], v133 offset0:106 offset1:223
	;; [unrolled: 1-line block ×5, first 2 shown]
	global_wb scope:SCOPE_SE
	s_wait_dscnt 0x0
	s_barrier_signal -1
	s_barrier_wait -1
	global_inv scope:SCOPE_SE
	v_lshrrev_b32_e32 v70, 16, v37
	v_lshrrev_b32_e32 v76, 16, v74
	;; [unrolled: 1-line block ×4, first 2 shown]
	v_mul_f16_e64 v156, v83, v74
	v_lshrrev_b32_e32 v151, 16, v141
	v_lshrrev_b32_e32 v153, 16, v144
	;; [unrolled: 1-line block ×3, first 2 shown]
	v_mul_f16_e64 v162, v83, v76
	v_mul_f16_e64 v157, v84, v75
	v_mul_f16_e64 v84, v84, v147
	v_mul_f16_e64 v158, v83, v140
	v_fma_f16 v76, v39, v76, -v156
	v_mul_f16_e64 v156, v83, v149
	v_mul_f16_e64 v159, v69, v141
	;; [unrolled: 1-line block ×7, first 2 shown]
	v_fmac_f16_e64 v162, v39, v74
	v_lshrrev_b32_e32 v146, 16, v38
	v_fma_f16 v147, v73, v147, -v157
	v_fmac_f16_e32 v84, v73, v75
	v_lshrrev_b32_e32 v148, 16, v130
	v_fma_f16 v149, v39, v149, -v158
	v_fmac_f16_e64 v156, v39, v140
	v_lshrrev_b32_e32 v150, 16, v131
	v_fma_f16 v151, v71, v151, -v159
	v_fmac_f16_e64 v69, v71, v141
	;; [unrolled: 3-line block ×4, first 2 shown]
	v_sub_f16_e32 v39, v70, v76
	v_sub_f16_e64 v76, v37, v162
	v_sub_f16_e64 v40, v146, v147
	v_sub_f16_e32 v84, v38, v84
	v_sub_f16_e64 v71, v148, v149
	v_sub_f16_e64 v141, v130, v156
	;; [unrolled: 1-line block ×7, first 2 shown]
	v_fma_f16 v70, v70, 2.0, -v39
	v_sub_f16_e64 v72, v143, v72
	v_fma_f16 v37, v37, 2.0, -v76
	v_fma_f16 v140, v146, 2.0, -v40
	;; [unrolled: 1-line block ×11, first 2 shown]
	v_pack_b32_f16 v39, v76, v39
	v_pack_b32_f16 v37, v37, v70
	v_pack_b32_f16 v40, v84, v40
	v_pack_b32_f16 v38, v38, v140
	v_pack_b32_f16 v71, v141, v71
	v_pack_b32_f16 v70, v130, v144
	v_pack_b32_f16 v69, v69, v73
	v_pack_b32_f16 v73, v83, v74
	v_pack_b32_f16 v74, v131, v145
	v_pack_b32_f16 v72, v72, v75
	v_pack_b32_f16 v75, v142, v146
	v_pack_b32_f16 v76, v143, v147
	ds_store_2addr_b32 v77, v37, v39 offset1:2
	ds_store_2addr_b32 v78, v38, v40 offset1:2
	ds_store_2addr_b32 v79, v70, v71 offset1:2
	ds_store_2addr_b32 v80, v74, v69 offset1:2
	ds_store_2addr_b32 v81, v75, v73 offset1:2
	ds_store_2addr_b32 v82, v76, v72 offset1:2
	global_wb scope:SCOPE_SE
	s_wait_dscnt 0x0
	s_barrier_signal -1
	s_barrier_wait -1
	global_inv scope:SCOPE_SE
	ds_load_2addr_b32 v[37:38], v64 offset1:117
	ds_load_2addr_b32 v[69:70], v132 offset0:84 offset1:201
	ds_load_2addr_b32 v[71:72], v136 offset0:40 offset1:157
	;; [unrolled: 1-line block ×5, first 2 shown]
	global_wb scope:SCOPE_SE
	s_wait_dscnt 0x0
	s_barrier_signal -1
	s_barrier_wait -1
	global_inv scope:SCOPE_SE
	v_lshrrev_b32_e32 v76, 16, v37
	v_lshrrev_b32_e32 v75, 16, v69
	;; [unrolled: 1-line block ×6, first 2 shown]
	v_mul_f16_e64 v136, v102, v69
	v_lshrrev_b32_e32 v130, 16, v73
	v_lshrrev_b32_e32 v131, 16, v80
	v_mul_f16_e64 v141, v100, v70
	v_mul_f16_e64 v142, v99, v72
	v_lshrrev_b32_e32 v135, 16, v81
	v_mul_f16_e64 v140, v101, v71
	v_mul_f16_e64 v143, v98, v73
	;; [unrolled: 1-line block ×3, first 2 shown]
	v_mul_f16_e32 v102, v102, v75
	v_mul_f16_e32 v101, v101, v82
	v_mul_f16_e64 v145, v96, v74
	v_fma_f16 v75, v17, v75, -v136
	v_mul_f16_e32 v100, v100, v83
	v_mul_f16_e32 v99, v99, v84
	v_mul_f16_e64 v136, v96, v134
	v_lshrrev_b32_e32 v78, 16, v38
	v_mul_f16_e64 v146, v95, v81
	v_fma_f16 v83, v19, v83, -v141
	v_fma_f16 v84, v20, v84, -v142
	v_mul_f16_e64 v98, v98, v130
	v_mul_f16_e64 v97, v97, v131
	v_fma_f16 v82, v18, v82, -v140
	v_fma_f16 v130, v15, v130, -v143
	;; [unrolled: 1-line block ×3, first 2 shown]
	v_mul_f16_e64 v95, v95, v135
	v_fmac_f16_e32 v102, v17, v69
	v_fmac_f16_e32 v101, v18, v71
	v_fma_f16 v96, v13, v134, -v145
	v_fmac_f16_e32 v100, v19, v70
	v_fmac_f16_e32 v99, v20, v72
	v_fmac_f16_e64 v136, v13, v74
	v_add_f16_e32 v13, v76, v75
	v_lshrrev_b32_e32 v79, 16, v39
	v_lshrrev_b32_e32 v77, 16, v40
	v_fma_f16 v134, v14, v135, -v146
	v_fmac_f16_e32 v98, v15, v73
	v_fmac_f16_e32 v97, v16, v80
	v_add_f16_e32 v15, v78, v83
	v_add_f16_e32 v17, v83, v84
	v_fmac_f16_e32 v95, v14, v81
	v_sub_f16_e32 v16, v75, v82
	v_add_f16_e32 v14, v75, v82
	v_add_f16_e64 v19, v130, v131
	v_add_f16_e32 v75, v102, v101
	v_add_f16_e32 v69, v13, v82
	;; [unrolled: 1-line block ×3, first 2 shown]
	v_add_f16_e64 v18, v79, v130
	v_sub_f16_e64 v73, v96, v134
	v_add_f16_e32 v20, v77, v96
	v_add_f16_e64 v71, v96, v134
	v_add_f16_e32 v80, v38, v100
	v_add_f16_e32 v96, v15, v84
	v_fmac_f16_e32 v78, -0.5, v17
	v_sub_f16_e32 v15, v100, v99
	v_add_f16_e32 v17, v39, v98
	v_add_f16_e32 v100, v98, v97
	;; [unrolled: 1-line block ×3, first 2 shown]
	v_fmac_f16_e32 v76, -0.5, v14
	v_sub_f16_e32 v14, v102, v101
	v_fmac_f16_e32 v79, -0.5, v19
	v_add_f16_e64 v102, v136, v95
	v_fma_f16 v19, -0.5, v75, v37
	v_sub_f16_e32 v70, v83, v84
	v_fmac_f16_e32 v38, -0.5, v82
	v_sub_f16_e64 v72, v130, v131
	v_add_f16_e64 v81, v18, v131
	v_sub_f16_e32 v18, v98, v97
	v_fmamk_f16 v84, v15, 0x3aee, v78
	v_fmac_f16_e32 v78, 0xbaee, v15
	v_add_f16_e32 v15, v17, v97
	v_fma_f16 v17, -0.5, v100, v39
	v_add_f16_e64 v98, v40, v136
	v_fmac_f16_e32 v77, -0.5, v71
	v_sub_f16_e64 v130, v136, v95
	v_add_f16_e32 v13, v74, v101
	v_fmamk_f16 v71, v14, 0x3aee, v76
	v_fmac_f16_e32 v76, 0xbaee, v14
	v_fmac_f16_e32 v40, -0.5, v102
	v_fmamk_f16 v14, v16, 0xbaee, v19
	v_fmac_f16_e32 v19, 0x3aee, v16
	v_add_f16_e64 v83, v20, v134
	v_add_f16_e32 v20, v80, v99
	v_fmamk_f16 v37, v70, 0xbaee, v38
	v_fmac_f16_e32 v38, 0x3aee, v70
	v_fmamk_f16 v82, v18, 0x3aee, v79
	v_fmamk_f16 v16, v72, 0xbaee, v17
	v_fmac_f16_e32 v79, 0xbaee, v18
	v_add_f16_e32 v18, v98, v95
	v_fma_f16 v97, 0x3aee, v130, v77
	v_fmac_f16_e64 v77, 0xbaee, v130
	v_fmac_f16_e32 v17, 0x3aee, v72
	v_fmamk_f16 v39, v73, 0xbaee, v40
	v_fmac_f16_e32 v40, 0x3aee, v73
	v_pack_b32_f16 v70, v13, v69
	v_pack_b32_f16 v75, v14, v71
	;; [unrolled: 1-line block ×12, first 2 shown]
	ds_store_2addr_b32 v88, v70, v75 offset1:4
	ds_store_b32 v88, v80 offset:32
	ds_store_2addr_b32 v87, v72, v95 offset1:4
	ds_store_b32 v87, v98 offset:32
	;; [unrolled: 2-line block ×4, first 2 shown]
	global_wb scope:SCOPE_SE
	s_wait_dscnt 0x0
	s_barrier_signal -1
	s_barrier_wait -1
	global_inv scope:SCOPE_SE
	s_and_saveexec_b32 s0, vcc_lo
	s_cbranch_execz .LBB0_7
; %bb.6:
	ds_load_2addr_b32 v[13:14], v64 offset1:108
	ds_load_2addr_b32 v[19:20], v133 offset0:88 offset1:196
	ds_load_2addr_b32 v[37:38], v132 offset0:48 offset1:156
	;; [unrolled: 1-line block ×5, first 2 shown]
	ds_load_b32 v112, v64 offset:5184
	s_wait_dscnt 0x6
	v_lshrrev_b32_e32 v69, 16, v13
	v_lshrrev_b32_e32 v71, 16, v14
	s_wait_dscnt 0x5
	v_lshrrev_b32_e32 v76, 16, v19
	v_lshrrev_b32_e32 v96, 16, v20
	;; [unrolled: 3-line block ×6, first 2 shown]
	s_wait_dscnt 0x0
	v_lshrrev_b32_e32 v113, 16, v112
.LBB0_7:
	s_wait_alu 0xfffe
	s_or_b32 exec_lo, exec_lo, s0
	global_wb scope:SCOPE_SE
	s_barrier_signal -1
	s_barrier_wait -1
	global_inv scope:SCOPE_SE
	s_and_saveexec_b32 s0, vcc_lo
	s_cbranch_execz .LBB0_9
; %bb.8:
	v_mul_f16_e32 v72, v107, v71
	v_mul_f16_e32 v70, v108, v113
	;; [unrolled: 1-line block ×5, first 2 shown]
	v_fmac_f16_e32 v72, v4, v14
	v_fmac_f16_e32 v70, v11, v112
	v_mul_f16_e32 v14, v106, v77
	v_fma_f16 v11, v11, v113, -v73
	v_fma_f16 v73, v4, v71, -v75
	v_mul_f16_e32 v4, v106, v40
	v_sub_f16_e32 v71, v72, v70
	v_fmac_f16_e32 v74, v5, v19
	v_fmac_f16_e32 v14, v10, v40
	v_mul_f16_e32 v85, v105, v19
	v_add_f16_e32 v80, v11, v73
	v_mul_f16_e32 v95, 0xba95, v71
	v_mul_f16_e32 v75, v103, v96
	v_sub_f16_e32 v40, v74, v14
	v_fma_f16 v4, v10, v77, -v4
	v_fma_f16 v76, v5, v76, -v85
	v_mul_f16_e32 v19, v104, v97
	v_fmamk_f16 v86, v80, 0x388b, v95
	v_fmac_f16_e32 v75, v6, v20
	v_mul_f16_e32 v5, v104, v39
	v_mul_f16_e32 v20, v103, v20
	;; [unrolled: 1-line block ×3, first 2 shown]
	v_add_f16_e32 v85, v4, v76
	v_fmac_f16_e32 v19, v9, v39
	v_fma_f16 v5, v9, v97, -v5
	v_fma_f16 v20, v6, v96, -v20
	v_add_f16_e32 v9, v69, v86
	v_fmamk_f16 v77, v85, 0xb5ac, v99
	v_mul_f16_e32 v39, v93, v84
	v_mul_f16_e32 v6, v94, v83
	v_sub_f16_e32 v10, v75, v19
	v_mul_f16_e32 v93, v93, v37
	v_add_f16_e32 v87, v77, v9
	v_fmac_f16_e32 v39, v7, v37
	v_fmac_f16_e32 v6, v8, v18
	v_mul_f16_e32 v77, v94, v18
	v_mul_f16_e32 v37, v91, v78
	;; [unrolled: 1-line block ×4, first 2 shown]
	v_add_f16_e32 v86, v5, v20
	v_sub_f16_e32 v9, v39, v6
	v_fma_f16 v8, v8, v83, -v77
	v_fma_f16 v77, v7, v84, -v93
	v_fmac_f16_e32 v37, v0, v38
	v_fmac_f16_e32 v18, v3, v17
	v_mul_f16_e32 v17, v92, v17
	v_mul_f16_e32 v38, v91, v38
	v_fmamk_f16 v88, v86, 0xbbc4, v97
	v_mul_f16_e32 v103, 0x394e, v9
	v_add_f16_e32 v92, v8, v77
	v_sub_f16_e32 v7, v37, v18
	v_fma_f16 v3, v3, v79, -v17
	v_fma_f16 v38, v0, v78, -v38
	v_add_f16_e32 v0, v88, v87
	v_fmamk_f16 v17, v92, 0xb9fd, v103
	v_mul_f16_e32 v102, 0x3bf1, v7
	v_sub_f16_e32 v101, v73, v11
	v_add_f16_e32 v87, v3, v38
	v_mul_f16_e32 v79, v89, v81
	v_add_f16_e32 v0, v17, v0
	v_mul_f16_e32 v78, v90, v82
	v_mul_f16_e32 v105, 0xba95, v101
	v_fmamk_f16 v17, v87, 0x2fb7, v102
	v_sub_f16_e32 v94, v76, v4
	v_fmac_f16_e32 v79, v1, v15
	v_fmac_f16_e32 v78, v2, v16
	v_mul_f16_e32 v16, v90, v16
	v_add_f16_e32 v83, v17, v0
	v_add_f16_e32 v17, v70, v72
	v_mul_f16_e32 v88, v89, v15
	v_add_f16_e32 v15, v14, v74
	v_mul_f16_e32 v106, 0xbb7b, v94
	v_sub_f16_e32 v91, v20, v5
	v_fma_f16 v89, v17, 0x388b, -v105
	v_sub_f16_e32 v0, v79, v78
	v_fma_f16 v84, v2, v82, -v16
	v_fma_f16 v88, v1, v81, -v88
	v_fma_f16 v16, v15, 0xb5ac, -v106
	v_add_f16_e32 v1, v13, v89
	v_add_f16_e32 v2, v19, v75
	v_mul_f16_e32 v107, 0xb3a8, v91
	v_sub_f16_e32 v93, v77, v8
	v_mul_f16_e32 v108, 0x3770, v0
	v_add_f16_e32 v90, v84, v88
	v_add_f16_e32 v1, v16, v1
	v_fma_f16 v81, v2, 0xbbc4, -v107
	v_add_f16_e32 v16, v6, v39
	v_mul_f16_e32 v112, 0x394e, v93
	v_fmamk_f16 v82, v90, 0x3b15, v108
	v_sub_f16_e32 v96, v38, v3
	v_add_f16_e32 v81, v81, v1
	v_mul_f16_e32 v113, 0xbbf1, v71
	v_fma_f16 v89, v16, 0xb9fd, -v112
	v_add_f16_e32 v1, v82, v83
	v_add_f16_e32 v82, v18, v37
	v_mul_f16_e64 v130, 0x3bf1, v96
	v_sub_f16_e32 v98, v88, v84
	v_add_f16_e32 v83, v89, v81
	v_fmamk_f16 v89, v80, 0x2fb7, v113
	v_mul_f16_e64 v131, 0xb3a8, v40
	v_fma_f16 v100, v82, 0x2fb7, -v130
	v_add_f16_e32 v81, v78, v79
	v_mul_f16_e64 v132, 0x3770, v98
	v_add_f16_e32 v89, v69, v89
	v_fma_f16 v104, 0xbbc4, v85, v131
	v_mul_f16_e64 v133, 0x3b7b, v10
	v_add_f16_e32 v83, v100, v83
	v_fma_f16 v100, v81, 0x3b15, -v132
	v_mul_f16_e64 v134, 0xbbf1, v101
	v_add_f16_e32 v89, v104, v89
	v_fma_f16 v104, 0xb5ac, v86, v133
	v_mul_f16_e64 v135, 0x3770, v9
	v_add_f16_e32 v83, v100, v83
	v_fma_f16 v100, v17, 0x2fb7, -v134
	;; [unrolled: 6-line block ×3, first 2 shown]
	v_mul_f16_e64 v139, 0x3b7b, v91
	v_add_f16_e32 v89, v104, v89
	v_fma_f16 v104, 0x388b, v87, v137
	v_mul_f16_e64 v140, 0xb94e, v0
	v_add_f16_e64 v100, v138, v100
	v_fma_f16 v138, v2, 0xb5ac, -v139
	v_mul_f16_e64 v141, 0x3770, v93
	v_add_f16_e32 v89, v104, v89
	v_fma_f16 v104, 0xb9fd, v90, v140
	v_mul_f16_e64 v142, 0xbb7b, v71
	v_add_f16_e64 v100, v138, v100
	v_fma_f16 v138, v16, 0x3b15, -v141
	;; [unrolled: 6-line block ×4, first 2 shown]
	v_mul_f16_e64 v148, 0xbb7b, v101
	v_add_f16_e64 v104, v146, v104
	v_fma_f16 v146, 0x3b15, v86, v147
	v_mul_f16_e64 v149, 0xbbf1, v9
	v_add_f16_e64 v100, v138, v100
	v_fma_f16 v138, v17, 0xb5ac, -v148
	v_mul_f16_e64 v150, 0x394e, v94
	v_add_f16_e64 v104, v146, v104
	v_fma_f16 v146, 0x2fb7, v92, v149
	v_mul_f16_e64 v151, 0x33a8, v7
	v_add_f16_e64 v138, v13, v138
	v_fma_f16 v152, v15, 0xb9fd, -v150
	;; [unrolled: 6-line block ×7, first 2 shown]
	v_mul_f16_e64 v164, 0x3bf1, v94
	v_add_f16_e64 v146, v160, v146
	v_fma_f16 v160, 0xbbc4, v92, v163
	v_mul_f16_e64 v165, 0x3770, v7
	v_fma_f16 v95, v80, 0x388b, -v95
	v_add_f16_e64 v152, v13, v152
	v_fma_f16 v166, v15, 0x2fb7, -v164
	v_mul_f16_e64 v167, 0xba95, v91
	v_add_f16_e64 v146, v160, v146
	v_fma_f16 v160, 0x3b15, v87, v165
	v_mul_f16_e64 v168, 0xbb7b, v0
	v_add_f16_e32 v95, v69, v95
	v_fma_f16 v99, v85, 0xb5ac, -v99
	v_add_f16_e64 v152, v166, v152
	v_fma_f16 v166, v2, 0x388b, -v167
	v_mul_f16_e64 v169, 0x33a8, v93
	v_add_f16_e64 v146, v160, v146
	v_fma_f16 v160, 0xb5ac, v90, v168
	v_mul_f16_e64 v170, 0xb3a8, v71
	v_add_f16_e32 v72, v13, v72
	v_add_f16_e32 v95, v99, v95
	v_fma_f16 v97, v86, 0xbbc4, -v97
	v_add_f16_e32 v73, v73, v69
	v_add_f16_e64 v152, v166, v152
	v_fma_f16 v166, v16, 0xbbc4, -v169
	v_mul_f16_e64 v171, 0x3770, v96
	v_add_f16_e64 v146, v160, v146
	v_fma_f16 v160, 0xbbc4, v80, v170
	v_mul_f16_e64 v172, 0x3770, v40
	v_add_f16_e32 v72, v74, v72
	v_fma_f16 v170, v80, 0xbbc4, -v170
	v_fma_f16 v156, v80, 0xb9fd, -v156
	;; [unrolled: 1-line block ×4, first 2 shown]
	v_add_f16_e32 v95, v97, v95
	v_fma_f16 v97, v92, 0xb9fd, -v103
	v_mul_f16_e32 v80, 0x3b15, v80
	v_add_f16_e32 v73, v76, v73
	v_add_f16_e64 v152, v166, v152
	v_fma_f16 v166, v82, 0x3b15, -v171
	v_mul_f16_e64 v173, 0xbb7b, v98
	v_add_f16_e64 v160, v69, v160
	v_fma_f16 v174, 0x3b15, v85, v172
	v_mul_f16_e64 v175, 0xb94e, v10
	v_add_f16_e32 v72, v75, v72
	v_add_f16_e64 v170, v69, v170
	v_fma_f16 v172, v85, 0x3b15, -v172
	v_add_f16_e64 v156, v69, v156
	v_fma_f16 v158, v85, 0x2fb7, -v158
	;; [unrolled: 2-line block ×3, first 2 shown]
	v_add_f16_e32 v113, v69, v113
	v_fma_f16 v131, v85, 0xbbc4, -v131
	v_fmac_f16_e32 v105, 0x388b, v17
	v_add_f16_e32 v95, v97, v95
	v_fma_f16 v97, v87, 0x2fb7, -v102
	v_fmamk_f16 v102, v71, 0x3770, v80
	v_mul_f16_e32 v85, 0x388b, v85
	v_add_f16_e32 v20, v20, v73
	v_add_f16_e64 v152, v166, v152
	v_fma_f16 v166, v81, 0xb5ac, -v173
	v_mul_f16_e64 v176, 0xb3a8, v101
	v_add_f16_e64 v160, v174, v160
	v_fma_f16 v174, 0xb9fd, v86, v175
	v_mul_f16_e64 v177, 0x3a95, v9
	v_add_f16_e32 v39, v39, v72
	v_add_f16_e64 v170, v172, v170
	v_fma_f16 v172, v86, 0xb9fd, -v175
	v_add_f16_e64 v156, v158, v156
	v_fma_f16 v158, v86, 0x388b, -v161
	;; [unrolled: 2-line block ×4, first 2 shown]
	v_add_f16_e32 v105, v13, v105
	v_fmac_f16_e32 v106, 0xb5ac, v15
	v_add_f16_e32 v95, v97, v95
	v_add_f16_e32 v97, v69, v102
	v_fmamk_f16 v102, v40, 0x3a95, v85
	v_mul_f16_e32 v86, 0x2fb7, v86
	v_add_f16_e32 v20, v77, v20
	v_add_f16_e64 v152, v166, v152
	v_fma_f16 v166, v17, 0xbbc4, -v176
	v_mul_f16_e64 v178, 0x3770, v94
	v_add_f16_e64 v160, v174, v160
	v_fma_f16 v174, 0x388b, v92, v177
	v_mul_f16_e64 v179, 0xbb7b, v7
	v_add_f16_e32 v37, v37, v39
	v_add_f16_e64 v170, v172, v170
	v_fma_f16 v172, v92, 0x388b, -v177
	v_add_f16_e64 v156, v158, v156
	v_fma_f16 v158, v92, 0xbbc4, -v163
	;; [unrolled: 2-line block ×4, first 2 shown]
	v_add_f16_e32 v103, v106, v105
	v_fma_f16 v105, v90, 0x3b15, -v108
	v_add_f16_e32 v97, v102, v97
	v_fmamk_f16 v102, v10, 0x3bf1, v86
	v_mul_f16_e32 v92, 0xb5ac, v92
	v_mul_f16_e32 v101, 0xb770, v101
	v_add_f16_e32 v20, v38, v20
	v_add_f16_e64 v166, v13, v166
	v_fma_f16 v180, v15, 0x3b15, -v178
	v_mul_f16_e64 v181, 0xb94e, v91
	v_add_f16_e64 v160, v174, v160
	v_fma_f16 v174, 0xb5ac, v87, v179
	v_mul_f16_e64 v182, 0x3bf1, v0
	v_add_f16_e32 v37, v79, v37
	v_add_f16_e32 v97, v102, v97
	v_fmamk_f16 v102, v9, 0x3b7b, v92
	v_add_f16_e32 v95, v105, v95
	v_fmamk_f16 v105, v17, 0x3b15, v101
	v_mul_f16_e32 v94, 0xba95, v94
	v_add_f16_e32 v20, v88, v20
	v_add_f16_e64 v166, v180, v166
	v_fma_f16 v180, v2, 0xb9fd, -v181
	v_mul_f16_e64 v183, 0x3a95, v93
	v_add_f16_e64 v160, v174, v160
	v_fma_f16 v174, 0x2fb7, v90, v182
	v_fmac_f16_e64 v134, 0x2fb7, v17
	v_add_f16_e32 v37, v78, v37
	v_fmac_f16_e64 v162, 0xb9fd, v17
	v_fmac_f16_e64 v148, 0xb5ac, v17
	v_add_f16_e32 v97, v102, v97
	v_add_f16_e32 v102, v13, v105
	v_fmamk_f16 v74, v15, 0x388b, v94
	v_mul_f16_e32 v91, 0xbbf1, v91
	v_add_f16_e32 v20, v84, v20
	v_add_f16_e64 v166, v180, v166
	v_fma_f16 v180, v16, 0x388b, -v183
	v_add_f16_e64 v160, v174, v160
	v_mul_f16_e64 v174, 0xbb7b, v96
	v_fmac_f16_e64 v176, 0xbbc4, v17
	v_add_f16_e64 v134, v13, v134
	v_fmac_f16_e64 v136, 0xbbc4, v15
	v_add_f16_e32 v18, v18, v37
	v_fmac_f16_e32 v80, 0xb770, v71
	v_fma_f16 v17, v17, 0x3b15, -v101
	v_add_f16_e64 v162, v13, v162
	v_fmac_f16_e64 v164, 0x2fb7, v15
	v_add_f16_e64 v148, v13, v148
	v_fmac_f16_e64 v150, 0xb9fd, v15
	v_add_f16_e32 v74, v74, v102
	v_fmamk_f16 v75, v2, 0x2fb7, v91
	v_mul_f16_e32 v76, 0xbb7b, v93
	v_add_f16_e32 v3, v3, v20
	v_add_f16_e64 v166, v180, v166
	v_fma_f16 v175, v82, 0xb5ac, -v174
	v_mul_f16_e64 v180, 0x3bf1, v98
	v_add_f16_e64 v176, v13, v176
	v_fmac_f16_e64 v178, 0x3b15, v15
	v_add_f16_e64 v134, v136, v134
	v_fmac_f16_e64 v139, 0xb5ac, v2
	v_fmac_f16_e32 v107, 0xbbc4, v2
	v_add_f16_e32 v6, v6, v18
	v_add_f16_e32 v18, v69, v80
	v_fmac_f16_e32 v85, 0xba95, v40
	v_add_f16_e32 v13, v13, v17
	v_fma_f16 v15, v15, 0x388b, -v94
	v_add_f16_e64 v170, v172, v170
	v_fma_f16 v172, v87, 0xb5ac, -v179
	v_add_f16_e64 v162, v164, v162
	v_fmac_f16_e64 v167, 0x388b, v2
	v_add_f16_e64 v156, v158, v156
	v_fma_f16 v158, v87, 0x3b15, -v165
	v_add_f16_e64 v142, v144, v142
	v_fma_f16 v144, v87, 0xbbc4, -v151
	v_add_f16_e64 v148, v150, v148
	v_fmac_f16_e64 v153, 0x3b15, v2
	v_add_f16_e64 v113, v131, v113
	v_fma_f16 v131, v87, 0x388b, -v137
	v_mul_f16_e32 v87, 0xb9fd, v87
	v_add_f16_e32 v73, v75, v74
	v_fmamk_f16 v74, v16, 0xb5ac, v76
	v_mul_f16_e32 v39, 0xb94e, v96
	v_add_f16_e32 v3, v8, v3
	v_add_f16_e64 v166, v175, v166
	v_fma_f16 v175, v81, 0x2fb7, -v180
	v_add_f16_e64 v176, v178, v176
	v_fmac_f16_e64 v181, 0xb9fd, v2
	v_add_f16_e64 v134, v139, v134
	v_fmac_f16_e64 v141, 0x3b15, v16
	v_add_f16_e32 v103, v107, v103
	v_fmac_f16_e32 v112, 0xb9fd, v16
	v_add_f16_e32 v8, v85, v18
	v_fmac_f16_e32 v86, 0xbbf1, v10
	v_add_f16_e32 v10, v15, v13
	v_fma_f16 v2, v2, 0x2fb7, -v91
	v_add_f16_e64 v162, v167, v162
	v_fmac_f16_e64 v169, 0xbbc4, v16
	v_add_f16_e64 v142, v144, v142
	v_add_f16_e64 v144, v153, v148
	v_fmac_f16_e64 v155, 0x2fb7, v16
	v_fmamk_f16 v105, v7, 0x394e, v87
	v_mul_f16_e32 v75, 0xbbc4, v90
	v_add_f16_e32 v73, v74, v73
	v_fmamk_f16 v38, v82, 0xb9fd, v39
	v_mul_f16_e32 v74, 0xb3a8, v98
	v_add_f16_e32 v6, v19, v6
	v_add_f16_e32 v3, v5, v3
	v_add_f16_e64 v166, v175, v166
	v_add_f16_e64 v175, v181, v176
	v_fmac_f16_e64 v183, 0x388b, v16
	v_add_f16_e64 v134, v141, v134
	v_fmac_f16_e64 v143, 0x388b, v82
	v_add_f16_e32 v103, v112, v103
	v_fmac_f16_e64 v130, 0x2fb7, v82
	v_add_f16_e32 v5, v86, v8
	v_fmac_f16_e32 v92, 0xbb7b, v9
	v_add_f16_e32 v2, v2, v10
	v_fma_f16 v8, v16, 0xb5ac, -v76
	v_add_f16_e64 v147, v169, v162
	v_fmac_f16_e64 v171, 0x3b15, v82
	v_add_f16_e64 v133, v155, v144
	v_fmac_f16_e64 v157, 0xbbc4, v82
	v_add_f16_e32 v72, v105, v97
	v_fmamk_f16 v77, v0, 0x33a8, v75
	v_add_f16_e32 v38, v38, v73
	v_fmamk_f16 v73, v81, 0xbbc4, v74
	v_add_f16_e32 v6, v14, v6
	v_add_f16_e32 v3, v4, v3
	v_add_f16_e64 v175, v183, v175
	v_fmac_f16_e64 v174, 0xb5ac, v82
	v_add_f16_e64 v113, v131, v113
	v_fma_f16 v131, v90, 0xb9fd, -v140
	v_add_f16_e64 v99, v143, v134
	v_fmac_f16_e64 v145, 0xb9fd, v81
	v_add_f16_e64 v103, v130, v103
	v_fmac_f16_e64 v132, 0x3b15, v81
	v_add_f16_e32 v4, v92, v5
	v_fmac_f16_e32 v87, 0xb94e, v7
	v_add_f16_e32 v2, v8, v2
	v_fma_f16 v5, v82, 0xb9fd, -v39
	v_add_f16_e64 v156, v158, v156
	v_fma_f16 v158, v90, 0xb5ac, -v168
	v_add_f16_e64 v147, v171, v147
	v_fmac_f16_e64 v173, 0xb5ac, v81
	v_fma_f16 v148, v90, 0x388b, -v154
	v_add_f16_e64 v133, v157, v133
	v_fmac_f16_e64 v159, 0x388b, v81
	v_add_f16_e32 v72, v77, v72
	v_add_f16_e32 v37, v73, v38
	;; [unrolled: 1-line block ×4, first 2 shown]
	v_mul_u32_u24_e32 v7, 0x9c, v68
	v_add_f16_e64 v170, v172, v170
	v_fma_f16 v172, v90, 0x2fb7, -v182
	v_add_f16_e64 v161, v174, v175
	v_fmac_f16_e64 v180, 0x2fb7, v81
	v_add_f16_e64 v113, v131, v113
	v_add_f16_e64 v99, v145, v99
	;; [unrolled: 1-line block ×3, first 2 shown]
	v_add_f16_e32 v4, v87, v4
	v_fmac_f16_e32 v75, 0xb3a8, v0
	v_add_f16_e32 v0, v5, v2
	v_fma_f16 v2, v81, 0xbbc4, -v74
	v_add_f16_e64 v156, v158, v156
	v_add_f16_e64 v147, v173, v147
	;; [unrolled: 1-line block ×3, first 2 shown]
	v_add_lshl_u32 v5, v7, v67, 2
	v_pack_b32_f16 v3, v6, v3
	v_pack_b32_f16 v6, v37, v72
	v_add_f16_e64 v9, v159, v133
	v_add_f16_e64 v170, v172, v170
	;; [unrolled: 1-line block ×3, first 2 shown]
	v_pack_b32_f16 v7, v103, v95
	v_pack_b32_f16 v8, v99, v113
	v_add_f16_e32 v4, v75, v4
	v_add_f16_e32 v0, v2, v0
	ds_store_2addr_b32 v5, v3, v6 offset1:12
	ds_store_2addr_b32 v5, v7, v8 offset0:24 offset1:36
	v_pack_b32_f16 v2, v9, v135
	v_pack_b32_f16 v3, v147, v156
	v_pack_b32_f16 v6, v161, v170
	v_pack_b32_f16 v7, v166, v160
	v_pack_b32_f16 v8, v152, v146
	v_pack_b32_f16 v9, v138, v104
	v_pack_b32_f16 v10, v100, v89
	v_pack_b32_f16 v1, v83, v1
	v_pack_b32_f16 v0, v0, v4
	ds_store_2addr_b32 v5, v2, v3 offset0:48 offset1:60
	ds_store_2addr_b32 v5, v6, v7 offset0:72 offset1:84
	;; [unrolled: 1-line block ×4, first 2 shown]
	ds_store_b32 v5, v0 offset:576
.LBB0_9:
	s_wait_alu 0xfffe
	s_or_b32 exec_lo, exec_lo, s0
	v_add_nc_u32_e32 v1, 0x600, v64
	v_add_nc_u32_e32 v2, 0xe00, v64
	global_wb scope:SCOPE_SE
	s_wait_dscnt 0x0
	s_barrier_signal -1
	s_barrier_wait -1
	global_inv scope:SCOPE_SE
	ds_load_2addr_b32 v[5:6], v64 offset1:117
	ds_load_2addr_b32 v[7:8], v1 offset0:84 offset1:201
	ds_load_2addr_b32 v[9:10], v2 offset0:40 offset1:157
	v_add_nc_u32_e32 v3, 0x200, v64
	v_add_nc_u32_e32 v4, 0xa00, v64
	;; [unrolled: 1-line block ×3, first 2 shown]
	ds_load_2addr_b32 v[13:14], v3 offset0:106 offset1:223
	ds_load_2addr_b32 v[15:16], v4 offset0:62 offset1:179
	;; [unrolled: 1-line block ×3, first 2 shown]
	global_wb scope:SCOPE_SE
	s_wait_dscnt 0x0
	s_barrier_signal -1
	s_barrier_wait -1
	global_inv scope:SCOPE_SE
	s_mov_b32 s8, 0xc201756d
	s_mov_b32 s9, 0x3f4756ca
	v_lshrrev_b32_e32 v11, 16, v5
	v_lshrrev_b32_e32 v20, 16, v7
	v_lshrrev_b32_e32 v37, 16, v9
	v_lshrrev_b32_e32 v38, 16, v8
	v_lshrrev_b32_e32 v39, 16, v10
	v_mul_f16_e32 v72, v116, v7
	v_mul_f16_e32 v73, v118, v9
	;; [unrolled: 1-line block ×3, first 2 shown]
	v_lshrrev_b32_e32 v67, 16, v15
	v_mul_f16_e32 v74, v116, v20
	v_fma_f16 v20, v21, v20, -v72
	v_mul_f16_e32 v72, v123, v38
	v_fmac_f16_e32 v75, v22, v9
	v_mul_f16_e32 v9, v120, v39
	v_lshrrev_b32_e32 v68, 16, v17
	v_lshrrev_b32_e32 v70, 16, v16
	v_mul_f16_e32 v76, v123, v8
	v_fmac_f16_e32 v74, v21, v7
	v_fma_f16 v7, v22, v37, -v73
	v_fmac_f16_e32 v72, v27, v8
	v_mul_f16_e32 v8, v120, v10
	v_mul_f16_e64 v22, v129, v67
	v_fmac_f16_e32 v9, v28, v10
	v_mul_f16_e64 v10, v129, v15
	v_lshrrev_b32_e32 v71, 16, v18
	v_fma_f16 v21, v27, v38, -v76
	v_mul_f16_e32 v27, v127, v68
	v_fmac_f16_e32 v22, v25, v15
	v_mul_f16_e32 v15, v127, v17
	v_fma_f16 v10, v25, v67, -v10
	v_mul_f16_e32 v25, v125, v70
	v_fmac_f16_e32 v27, v26, v17
	v_mul_f16_e32 v17, v125, v16
	;; [unrolled: 4-line block ×3, first 2 shown]
	v_fma_f16 v17, v23, v70, -v17
	v_add_f16_e32 v23, v74, v75
	v_fmac_f16_e32 v26, v24, v18
	v_fma_f16 v8, v28, v39, -v8
	v_fma_f16 v16, v24, v71, -v16
	v_add_f16_e32 v24, v20, v7
	v_add_f16_e32 v18, v5, v74
	v_fma_f16 v5, -0.5, v23, v5
	v_sub_f16_e32 v23, v20, v7
	v_add_f16_e32 v20, v11, v20
	v_fmac_f16_e32 v11, -0.5, v24
	v_sub_f16_e32 v24, v74, v75
	v_lshrrev_b32_e32 v19, 16, v6
	v_fmamk_f16 v28, v23, 0xbaee, v5
	v_fmac_f16_e32 v5, 0x3aee, v23
	v_add_f16_e32 v7, v20, v7
	v_add_f16_e32 v20, v72, v9
	v_fmamk_f16 v23, v24, 0x3aee, v11
	v_add_f16_e32 v37, v6, v72
	v_fmac_f16_e32 v11, 0xbaee, v24
	v_add_f16_e32 v24, v21, v8
	v_fmac_f16_e32 v6, -0.5, v20
	v_sub_f16_e32 v20, v21, v8
	v_add_f16_e32 v37, v37, v9
	v_add_f16_e32 v21, v19, v21
	v_fmac_f16_e32 v19, -0.5, v24
	v_sub_f16_e32 v9, v72, v9
	v_lshrrev_b32_e32 v40, 16, v13
	v_fmamk_f16 v24, v20, 0xbaee, v6
	v_fmac_f16_e32 v6, 0x3aee, v20
	v_add_f16_e32 v8, v21, v8
	v_add_f16_e32 v20, v22, v27
	v_fmamk_f16 v21, v9, 0x3aee, v19
	v_fmac_f16_e32 v19, 0xbaee, v9
	v_add_f16_e32 v9, v10, v15
	v_add_f16_e32 v38, v13, v22
	v_fma_f16 v13, -0.5, v20, v13
	v_sub_f16_e32 v20, v10, v15
	v_add_f16_e32 v10, v40, v10
	v_fmac_f16_e32 v40, -0.5, v9
	v_sub_f16_e32 v9, v22, v27
	v_lshrrev_b32_e32 v69, 16, v14
	v_fmamk_f16 v22, v20, 0xbaee, v13
	v_fmac_f16_e32 v13, 0x3aee, v20
	v_add_f16_e32 v10, v10, v15
	v_add_f16_e32 v15, v25, v26
	v_fmamk_f16 v20, v9, 0x3aee, v40
	v_fmac_f16_e32 v40, 0xbaee, v9
	v_add_f16_e32 v9, v17, v16
	v_add_f16_e32 v18, v18, v75
	;; [unrolled: 1-line block ×4, first 2 shown]
	v_fmac_f16_e32 v14, -0.5, v15
	v_sub_f16_e32 v15, v17, v16
	v_add_f16_e32 v17, v69, v17
	v_fmac_f16_e32 v69, -0.5, v9
	v_sub_f16_e32 v9, v25, v26
	v_add_f16_e32 v25, v27, v26
	v_fmamk_f16 v26, v15, 0xbaee, v14
	v_fmac_f16_e32 v14, 0x3aee, v15
	v_add_f16_e32 v15, v17, v16
	v_fmamk_f16 v16, v9, 0x3aee, v69
	v_fmac_f16_e32 v69, 0xbaee, v9
	v_pack_b32_f16 v7, v18, v7
	v_pack_b32_f16 v9, v28, v23
	;; [unrolled: 1-line block ×5, first 2 shown]
	ds_store_2addr_b32 v64, v7, v9 offset1:156
	ds_store_b32 v64, v5 offset:1248
	ds_store_2addr_b32 v109, v8, v11 offset1:156
	v_pack_b32_f16 v5, v6, v19
	v_pack_b32_f16 v6, v38, v10
	;; [unrolled: 1-line block ×6, first 2 shown]
	v_add_nc_u32_e32 v11, 0xe00, v110
	v_pack_b32_f16 v13, v14, v69
	ds_store_b32 v109, v5 offset:1248
	ds_store_2addr_b32 v111, v6, v7 offset1:156
	ds_store_b32 v111, v8 offset:1248
	ds_store_2addr_b32 v11, v9, v10 offset0:40 offset1:196
	ds_store_b32 v110, v13 offset:4992
	global_wb scope:SCOPE_SE
	s_wait_dscnt 0x0
	s_barrier_signal -1
	s_barrier_wait -1
	global_inv scope:SCOPE_SE
	ds_load_2addr_b32 v[5:6], v64 offset1:117
	ds_load_2addr_b32 v[7:8], v1 offset0:84 offset1:201
	ds_load_2addr_b32 v[9:10], v2 offset0:40 offset1:157
	;; [unrolled: 1-line block ×5, first 2 shown]
	s_wait_dscnt 0x5
	v_lshrrev_b32_e32 v11, 16, v5
	s_wait_dscnt 0x4
	v_lshrrev_b32_e32 v19, 16, v7
	;; [unrolled: 2-line block ×3, first 2 shown]
	v_lshrrev_b32_e32 v22, 16, v8
	v_lshrrev_b32_e32 v23, 16, v10
	v_mul_f16_e64 v38, v128, v7
	v_mul_f16_e64 v28, v128, v19
	v_mul_f16_e32 v40, v126, v20
	s_wait_dscnt 0x1
	v_lshrrev_b32_e32 v25, 16, v15
	s_wait_dscnt 0x0
	v_lshrrev_b32_e32 v26, 16, v17
	v_fma_f16 v19, v35, v19, -v38
	v_fmac_f16_e32 v28, v35, v7
	v_mul_f16_e32 v7, v126, v9
	v_mul_f16_e32 v35, v124, v22
	v_fmac_f16_e32 v40, v36, v9
	v_mul_f16_e32 v9, v124, v8
	v_lshrrev_b32_e32 v37, 16, v16
	v_fma_f16 v7, v36, v20, -v7
	v_mul_f16_e32 v20, v121, v23
	v_fmac_f16_e32 v35, v33, v8
	v_mul_f16_e32 v8, v121, v10
	v_fma_f16 v9, v33, v22, -v9
	v_mul_f16_e32 v22, v119, v25
	v_fmac_f16_e32 v20, v34, v10
	v_mul_f16_e32 v10, v119, v15
	v_lshrrev_b32_e32 v39, 16, v18
	v_fma_f16 v8, v34, v23, -v8
	v_mul_f16_e32 v23, v117, v26
	v_fmac_f16_e32 v22, v31, v15
	v_mul_f16_e32 v15, v117, v17
	v_fma_f16 v10, v31, v25, -v10
	v_mul_f16_e32 v25, v115, v37
	v_fmac_f16_e32 v23, v32, v17
	v_mul_f16_e32 v17, v115, v16
	;; [unrolled: 4-line block ×3, first 2 shown]
	v_fma_f16 v17, v29, v37, -v17
	v_add_f16_e32 v29, v28, v40
	v_fmac_f16_e32 v26, v30, v18
	v_add_f16_e32 v18, v5, v28
	v_fma_f16 v16, v30, v39, -v16
	v_add_f16_e32 v30, v19, v7
	v_fma_f16 v5, -0.5, v29, v5
	v_sub_f16_e32 v29, v19, v7
	v_add_f16_e32 v19, v11, v19
	v_sub_f16_e32 v28, v28, v40
	v_fmac_f16_e32 v11, -0.5, v30
	v_lshrrev_b32_e32 v21, 16, v6
	v_fmamk_f16 v30, v29, 0xbaee, v5
	v_fmac_f16_e32 v5, 0x3aee, v29
	v_add_f16_e32 v7, v19, v7
	v_add_f16_e32 v19, v35, v20
	v_fmamk_f16 v29, v28, 0x3aee, v11
	v_add_f16_e32 v31, v6, v35
	v_fmac_f16_e32 v11, 0xbaee, v28
	v_add_f16_e32 v28, v9, v8
	v_fmac_f16_e32 v6, -0.5, v19
	v_sub_f16_e32 v19, v9, v8
	v_add_f16_e32 v31, v31, v20
	v_add_f16_e32 v9, v21, v9
	v_fmac_f16_e32 v21, -0.5, v28
	v_sub_f16_e32 v20, v35, v20
	v_lshrrev_b32_e32 v24, 16, v13
	v_fmamk_f16 v28, v19, 0xbaee, v6
	v_fmac_f16_e32 v6, 0x3aee, v19
	v_add_f16_e32 v8, v9, v8
	v_add_f16_e32 v9, v22, v23
	v_fmamk_f16 v19, v20, 0x3aee, v21
	v_add_f16_e32 v32, v13, v22
	v_fmac_f16_e32 v21, 0xbaee, v20
	v_add_f16_e32 v20, v10, v15
	v_lshrrev_b32_e32 v27, 16, v14
	v_fma_f16 v9, -0.5, v9, v13
	v_sub_f16_e32 v13, v10, v15
	v_add_f16_e32 v32, v32, v23
	v_add_f16_e32 v10, v24, v10
	v_fmac_f16_e32 v24, -0.5, v20
	v_sub_f16_e32 v20, v22, v23
	v_add_f16_e32 v23, v25, v26
	v_fmamk_f16 v22, v13, 0xbaee, v9
	v_fmac_f16_e32 v9, 0x3aee, v13
	v_add_f16_e32 v10, v10, v15
	v_fmamk_f16 v13, v20, 0x3aee, v24
	v_add_f16_e32 v15, v14, v25
	v_fmac_f16_e32 v14, -0.5, v23
	v_sub_f16_e32 v23, v17, v16
	v_fmac_f16_e32 v24, 0xbaee, v20
	v_add_f16_e32 v20, v27, v17
	v_add_f16_e32 v17, v17, v16
	;; [unrolled: 1-line block ×4, first 2 shown]
	v_pack_b32_f16 v5, v5, v11
	v_add_f16_e32 v16, v20, v16
	v_fmac_f16_e32 v27, -0.5, v17
	v_sub_f16_e32 v17, v25, v26
	v_pack_b32_f16 v7, v18, v7
	v_pack_b32_f16 v18, v30, v29
	v_fmamk_f16 v33, v23, 0xbaee, v14
	v_pack_b32_f16 v8, v31, v8
	v_fmamk_f16 v11, v17, 0x3aee, v27
	v_fmac_f16_e32 v14, 0x3aee, v23
	v_fmac_f16_e32 v27, 0xbaee, v17
	v_pack_b32_f16 v6, v6, v21
	ds_store_b32 v64, v18 offset:1872
	ds_store_b32 v64, v5 offset:3744
	ds_store_2addr_b32 v64, v7, v8 offset1:117
	v_pack_b32_f16 v5, v28, v19
	v_pack_b32_f16 v7, v32, v10
	;; [unrolled: 1-line block ×3, first 2 shown]
	v_add_nc_u32_e32 v10, 0x800, v64
	v_pack_b32_f16 v13, v15, v16
	v_pack_b32_f16 v11, v33, v11
	;; [unrolled: 1-line block ×4, first 2 shown]
	ds_store_b32 v64, v6 offset:4212
	ds_store_2addr_b32 v10, v5, v8 offset0:73 offset1:190
	ds_store_2addr_b32 v3, v7, v13 offset0:106 offset1:223
	ds_store_b32 v64, v11 offset:3276
	ds_store_2addr_b32 v0, v9, v14 offset0:18 offset1:135
	global_wb scope:SCOPE_SE
	s_wait_dscnt 0x0
	s_barrier_signal -1
	s_barrier_wait -1
	global_inv scope:SCOPE_SE
	ds_load_2addr_b32 v[5:6], v64 offset1:117
	s_wait_dscnt 0x0
	v_lshrrev_b32_e32 v9, 16, v5
	s_delay_alu instid0(VALU_DEP_1) | instskip(NEXT) | instid1(VALU_DEP_1)
	v_mul_f16_e32 v7, v66, v9
	v_fmac_f16_e32 v7, v63, v5
	v_mul_f16_e32 v5, v66, v5
	s_delay_alu instid0(VALU_DEP_2) | instskip(NEXT) | instid1(VALU_DEP_2)
	v_cvt_f32_f16_e32 v7, v7
	v_fma_f16 v5, v63, v9, -v5
	s_delay_alu instid0(VALU_DEP_2) | instskip(NEXT) | instid1(VALU_DEP_2)
	v_cvt_f64_f32_e32 v[7:8], v7
	v_cvt_f32_f16_e32 v5, v5
	s_delay_alu instid0(VALU_DEP_1) | instskip(SKIP_3) | instid1(VALU_DEP_1)
	v_cvt_f64_f32_e32 v[9:10], v5
	ds_load_2addr_b32 v[4:5], v4 offset0:62 offset1:179
	s_wait_dscnt 0x0
	v_lshrrev_b32_e32 v11, 16, v4
	v_mul_f16_e32 v14, v65, v11
	s_delay_alu instid0(VALU_DEP_1) | instskip(SKIP_4) | instid1(VALU_DEP_2)
	v_fmac_f16_e32 v14, v62, v4
	s_wait_alu 0xfffe
	v_mul_f64_e32 v[7:8], s[8:9], v[7:8]
	v_mul_f16_e32 v4, v65, v4
	v_mul_f64_e32 v[9:10], s[8:9], v[9:10]
	v_fma_f16 v4, v62, v11, -v4
	s_delay_alu instid0(VALU_DEP_1) | instskip(SKIP_3) | instid1(VALU_DEP_3)
	v_cvt_f32_f16_e32 v4, v4
	v_and_or_b32 v7, 0x1ff, v8, v7
	v_lshrrev_b32_e32 v13, 8, v8
	v_bfe_u32 v15, v8, 20, 11
	v_cmp_ne_u32_e32 vcc_lo, 0, v7
	v_and_or_b32 v9, 0x1ff, v10, v9
	s_delay_alu instid0(VALU_DEP_3)
	v_add_nc_u32_e32 v21, 0xfffffc10, v15
	v_bfe_u32 v20, v10, 20, 11
	v_lshrrev_b32_e32 v19, 8, v10
	s_wait_alu 0xfffd
	v_cndmask_b32_e64 v7, 0, 1, vcc_lo
	v_cmp_ne_u32_e32 vcc_lo, 0, v9
	v_lshrrev_b32_e32 v10, 16, v10
	s_delay_alu instid0(VALU_DEP_3)
	v_and_or_b32 v7, 0xffe, v13, v7
	v_sub_nc_u32_e32 v13, 0x3f1, v15
	s_wait_alu 0xfffd
	v_cndmask_b32_e64 v9, 0, 1, vcc_lo
	v_sub_nc_u32_e32 v15, 0x3f1, v20
	v_add_nc_u32_e32 v20, 0xfffffc10, v20
	v_or_b32_e32 v16, 0x1000, v7
	v_med3_i32 v17, v13, 0, 13
	v_cvt_f32_f16_e32 v13, v14
	v_and_or_b32 v9, 0xffe, v19, v9
	s_delay_alu instid0(VALU_DEP_3) | instskip(NEXT) | instid1(VALU_DEP_3)
	v_lshrrev_b32_e32 v18, v17, v16
	v_cvt_f64_f32_e32 v[13:14], v13
	s_delay_alu instid0(VALU_DEP_2) | instskip(NEXT) | instid1(VALU_DEP_1)
	v_lshlrev_b32_e32 v17, v17, v18
	v_cmp_ne_u32_e32 vcc_lo, v17, v16
	v_or_b32_e32 v17, 0x1000, v9
	s_wait_alu 0xfffd
	v_cndmask_b32_e64 v16, 0, 1, vcc_lo
	v_cmp_gt_i32_e32 vcc_lo, 1, v21
	s_delay_alu instid0(VALU_DEP_2) | instskip(SKIP_3) | instid1(VALU_DEP_2)
	v_or_b32_e32 v11, v18, v16
	v_lshl_or_b32 v16, v21, 12, v7
	v_med3_i32 v18, v15, 0, 13
	s_wait_alu 0xfffd
	v_cndmask_b32_e32 v11, v16, v11, vcc_lo
	v_cvt_f64_f32_e32 v[15:16], v4
	s_delay_alu instid0(VALU_DEP_3) | instskip(NEXT) | instid1(VALU_DEP_3)
	v_lshrrev_b32_e32 v19, v18, v17
	v_and_b32_e32 v4, 7, v11
	v_lshrrev_b32_e32 v11, 2, v11
	s_delay_alu instid0(VALU_DEP_2) | instskip(SKIP_2) | instid1(VALU_DEP_2)
	v_cmp_lt_i32_e32 vcc_lo, 5, v4
	v_cmp_eq_u32_e64 s0, 3, v4
	v_mul_f64_e32 v[13:14], s[8:9], v[13:14]
	s_or_b32 vcc_lo, s0, vcc_lo
	s_wait_alu 0xfffe
	v_add_co_ci_u32_e32 v11, vcc_lo, 0, v11, vcc_lo
	v_cmp_ne_u32_e32 vcc_lo, 0, v7
	s_wait_alu 0xfffd
	v_cndmask_b32_e64 v7, 0, 1, vcc_lo
	v_cmp_gt_i32_e32 vcc_lo, 1, v20
	v_lshlrev_b32_e32 v18, v18, v19
	s_delay_alu instid0(VALU_DEP_3) | instskip(NEXT) | instid1(VALU_DEP_2)
	v_lshl_or_b32 v7, v7, 9, 0x7c00
	v_cmp_ne_u32_e64 s1, v18, v17
	v_mad_co_u64_u32 v[17:18], null, s6, v12, 0
	s_wait_alu 0xf1ff
	s_delay_alu instid0(VALU_DEP_2) | instskip(SKIP_1) | instid1(VALU_DEP_2)
	v_cndmask_b32_e64 v4, 0, 1, s1
	v_mul_f64_e32 v[15:16], s[8:9], v[15:16]
	v_or_b32_e32 v4, v19, v4
	v_lshl_or_b32 v19, v20, 12, v9
	s_wait_alu 0xfffd
	s_delay_alu instid0(VALU_DEP_1)
	v_cndmask_b32_e32 v19, v19, v4, vcc_lo
	v_cmp_gt_i32_e32 vcc_lo, 31, v21
	v_mov_b32_e32 v4, v18
	v_lshrrev_b32_e32 v23, 8, v14
	v_bfe_u32 v24, v14, 20, 11
	v_and_b32_e32 v22, 7, v19
	s_wait_alu 0xfffd
	v_cndmask_b32_e32 v18, 0x7c00, v11, vcc_lo
	v_cmp_eq_u32_e32 vcc_lo, 0x40f, v21
	v_mad_co_u64_u32 v[11:12], null, s7, v12, v[4:5]
	v_cmp_eq_u32_e64 s0, 3, v22
	v_lshrrev_b32_e32 v4, 2, v19
	s_wait_alu 0xfffd
	v_cndmask_b32_e32 v18, v18, v7, vcc_lo
	v_cmp_lt_i32_e32 vcc_lo, 5, v22
	v_lshrrev_b32_e32 v19, 16, v6
	v_lshrrev_b32_e32 v21, 16, v8
	s_or_b32 vcc_lo, s0, vcc_lo
	s_delay_alu instid0(VALU_DEP_2)
	v_mul_f16_e32 v12, v61, v19
	s_wait_alu 0xfffe
	v_add_co_ci_u32_e32 v4, vcc_lo, 0, v4, vcc_lo
	v_cmp_ne_u32_e32 vcc_lo, 0, v9
	v_and_or_b32 v9, 0x1ff, v14, v13
	v_fmac_f16_e32 v12, v59, v6
	v_mul_f16_e32 v6, v61, v6
	v_lshrrev_b32_e32 v14, 16, v14
	s_wait_alu 0xfffd
	v_cndmask_b32_e64 v7, 0, 1, vcc_lo
	v_cmp_gt_i32_e32 vcc_lo, 31, v20
	v_cvt_f32_f16_e32 v12, v12
	v_and_or_b32 v15, 0x1ff, v16, v15
	v_fma_f16 v6, v59, v19, -v6
	v_lshl_or_b32 v22, v7, 9, 0x7c00
	s_wait_alu 0xfffd
	v_cndmask_b32_e32 v4, 0x7c00, v4, vcc_lo
	v_cmp_ne_u32_e32 vcc_lo, 0, v9
	v_mad_co_u64_u32 v[7:8], null, s4, v58, 0
	v_cvt_f64_f32_e32 v[12:13], v12
	v_cvt_f32_f16_e32 v6, v6
	s_wait_alu 0xfffd
	v_cndmask_b32_e64 v9, 0, 1, vcc_lo
	v_cmp_eq_u32_e32 vcc_lo, 0x40f, v20
	v_lshrrev_b32_e32 v19, 8, v16
	s_wait_alu 0xfffd
	v_cndmask_b32_e32 v20, v4, v22, vcc_lo
	v_mov_b32_e32 v4, v8
	v_and_or_b32 v22, 0xffe, v23, v9
	v_sub_nc_u32_e32 v23, 0x3f1, v24
	v_cmp_ne_u32_e32 vcc_lo, 0, v15
	s_delay_alu instid0(VALU_DEP_4) | instskip(SKIP_1) | instid1(VALU_DEP_4)
	v_mad_co_u64_u32 v[8:9], null, s5, v58, v[4:5]
	v_and_or_b32 v4, 0x8000, v21, v18
	v_med3_i32 v21, v23, 0, 13
	v_mov_b32_e32 v18, v11
	v_or_b32_e32 v11, 0x1000, v22
	v_and_or_b32 v9, 0x8000, v10, v20
	v_and_b32_e32 v4, 0xffff, v4
	s_wait_alu 0xfffd
	v_cndmask_b32_e64 v15, 0, 1, vcc_lo
	v_add_nc_u32_e32 v23, 0xfffffc10, v24
	v_lshrrev_b32_e32 v20, v21, v11
	v_lshl_or_b32 v4, v9, 16, v4
	v_lshlrev_b64_e32 v[9:10], 2, v[17:18]
	v_and_or_b32 v15, 0xffe, v19, v15
	s_delay_alu instid0(VALU_DEP_4) | instskip(SKIP_2) | instid1(VALU_DEP_4)
	v_lshlrev_b32_e32 v17, v21, v20
	v_bfe_u32 v21, v16, 20, 11
	v_lshrrev_b32_e32 v16, 16, v16
	v_or_b32_e32 v24, 0x1000, v15
	s_delay_alu instid0(VALU_DEP_4)
	v_cmp_ne_u32_e32 vcc_lo, v17, v11
	v_cvt_f64_f32_e32 v[17:18], v6
	v_sub_nc_u32_e32 v19, 0x3f1, v21
	v_lshlrev_b64_e32 v[6:7], 2, v[7:8]
	s_wait_alu 0xfffd
	v_cndmask_b32_e64 v11, 0, 1, vcc_lo
	v_add_co_u32 v9, vcc_lo, s2, v9
	s_wait_alu 0xfffd
	v_add_co_ci_u32_e32 v10, vcc_lo, s3, v10, vcc_lo
	s_delay_alu instid0(VALU_DEP_3)
	v_or_b32_e32 v8, v20, v11
	v_mul_f64_e32 v[11:12], s[8:9], v[12:13]
	v_lshl_or_b32 v20, v23, 12, v22
	v_med3_i32 v19, v19, 0, 13
	v_cmp_gt_i32_e32 vcc_lo, 1, v23
	s_mul_u64 s[2:3], s[4:5], 0xaf8
	s_delay_alu instid0(VALU_DEP_2)
	v_lshrrev_b32_e32 v13, v19, v24
	s_wait_alu 0xfffd
	v_cndmask_b32_e32 v8, v20, v8, vcc_lo
	v_add_co_u32 v6, vcc_lo, v9, v6
	s_wait_alu 0xfffd
	v_add_co_ci_u32_e32 v7, vcc_lo, v10, v7, vcc_lo
	v_lshlrev_b32_e32 v10, v19, v13
	v_add_nc_u32_e32 v19, 0xfffffc10, v21
	v_and_b32_e32 v9, 7, v8
	global_store_b32 v[6:7], v4, off
	v_lshrrev_b32_e32 v4, 2, v8
	v_cmp_ne_u32_e64 s1, v10, v24
	v_lshrrev_b32_e32 v20, 16, v5
	v_cmp_lt_i32_e32 vcc_lo, 5, v9
	v_cmp_eq_u32_e64 s0, 3, v9
	s_wait_alu 0xf1ff
	v_cndmask_b32_e64 v8, 0, 1, s1
	s_delay_alu instid0(VALU_DEP_2)
	s_or_b32 vcc_lo, s0, vcc_lo
	s_wait_alu 0xfffe
	v_add_co_ci_u32_e32 v4, vcc_lo, 0, v4, vcc_lo
	v_cmp_ne_u32_e32 vcc_lo, 0, v22
	v_or_b32_e32 v10, v13, v8
	v_mul_f64_e32 v[8:9], s[8:9], v[17:18]
	v_lshl_or_b32 v13, v19, 12, v15
	v_mul_f16_e32 v17, v60, v20
	s_wait_alu 0xfffd
	v_cndmask_b32_e64 v18, 0, 1, vcc_lo
	v_cmp_gt_i32_e32 vcc_lo, 1, v19
	v_and_or_b32 v21, 0x1ff, v12, v11
	v_fmac_f16_e32 v17, v57, v5
	v_bfe_u32 v22, v12, 20, 11
	s_wait_alu 0xfffd
	v_cndmask_b32_e32 v13, v13, v10, vcc_lo
	v_cmp_gt_i32_e32 vcc_lo, 31, v23
	v_lshl_or_b32 v10, v18, 9, 0x7c00
	v_cvt_f32_f16_e32 v17, v17
	v_cmp_ne_u32_e64 s0, 0, v21
	v_and_b32_e32 v18, 7, v13
	s_wait_alu 0xfffd
	v_cndmask_b32_e32 v4, 0x7c00, v4, vcc_lo
	v_cmp_eq_u32_e32 vcc_lo, 0x40f, v23
	v_lshrrev_b32_e32 v13, 2, v13
	v_lshrrev_b32_e32 v21, 8, v12
	v_mul_f16_e32 v5, v60, v5
	v_lshrrev_b32_e32 v12, 16, v12
	s_wait_alu 0xfffd
	v_cndmask_b32_e32 v4, v4, v10, vcc_lo
	v_cvt_f64_f32_e32 v[10:11], v17
	v_cmp_lt_i32_e32 vcc_lo, 5, v18
	s_wait_alu 0xf1ff
	v_cndmask_b32_e64 v17, 0, 1, s0
	v_cmp_eq_u32_e64 s0, 3, v18
	v_sub_nc_u32_e32 v18, 0x3f1, v22
	v_and_or_b32 v14, 0x8000, v14, v4
	v_fma_f16 v5, v57, v20, -v5
	v_and_or_b32 v17, 0xffe, v21, v17
	s_or_b32 vcc_lo, s0, vcc_lo
	v_med3_i32 v18, v18, 0, 13
	s_wait_alu 0xfffe
	v_add_co_ci_u32_e32 v13, vcc_lo, 0, v13, vcc_lo
	v_cmp_ne_u32_e32 vcc_lo, 0, v15
	v_or_b32_e32 v21, 0x1000, v17
	v_cvt_f32_f16_e32 v5, v5
	v_and_b32_e32 v23, 0xffff, v14
	v_and_or_b32 v8, 0x1ff, v9, v8
	s_wait_alu 0xfffd
	v_cndmask_b32_e64 v15, 0, 1, vcc_lo
	v_cmp_gt_i32_e32 vcc_lo, 31, v19
	s_wait_alu 0xfffd
	v_cndmask_b32_e32 v4, 0x7c00, v13, vcc_lo
	s_delay_alu instid0(VALU_DEP_3) | instskip(SKIP_4) | instid1(VALU_DEP_3)
	v_lshl_or_b32 v13, v15, 9, 0x7c00
	v_lshrrev_b32_e32 v15, v18, v21
	v_cmp_eq_u32_e32 vcc_lo, 0x40f, v19
	v_bfe_u32 v19, v9, 20, 11
	s_wait_alu 0xfffd
	v_dual_cndmask_b32 v13, v4, v13 :: v_dual_lshlrev_b32 v4, v18, v15
	v_cmp_ne_u32_e32 vcc_lo, 0, v8
	v_lshrrev_b32_e32 v18, 8, v9
	s_delay_alu instid0(VALU_DEP_3)
	v_and_or_b32 v16, 0x8000, v16, v13
	ds_load_2addr_b32 v[13:14], v3 offset0:106 offset1:223
	s_wait_alu 0xfffd
	v_cndmask_b32_e64 v8, 0, 1, vcc_lo
	v_cmp_ne_u32_e32 vcc_lo, v4, v21
	v_add_nc_u32_e32 v21, 0xfffffc10, v22
	v_cvt_f64_f32_e32 v[4:5], v5
	v_mul_f64_e32 v[10:11], s[8:9], v[10:11]
	v_and_or_b32 v8, 0xffe, v18, v8
	s_wait_alu 0xfffd
	v_cndmask_b32_e64 v20, 0, 1, vcc_lo
	v_sub_nc_u32_e32 v18, 0x3f1, v19
	v_cmp_gt_i32_e32 vcc_lo, 1, v21
	v_lshl_or_b32 v23, v16, 16, v23
	v_or_b32_e32 v22, 0x1000, v8
	v_or_b32_e32 v15, v15, v20
	v_lshl_or_b32 v20, v21, 12, v17
	v_med3_i32 v18, v18, 0, 13
	s_wait_alu 0xfffd
	s_delay_alu instid0(VALU_DEP_2) | instskip(NEXT) | instid1(VALU_DEP_2)
	v_cndmask_b32_e32 v15, v20, v15, vcc_lo
	v_lshrrev_b32_e32 v20, v18, v22
	v_add_co_u32 v6, vcc_lo, v6, s2
	s_wait_alu 0xfffd
	v_add_co_ci_u32_e32 v7, vcc_lo, s3, v7, vcc_lo
	v_and_b32_e32 v3, 7, v15
	v_lshlrev_b32_e32 v16, v18, v20
	v_add_nc_u32_e32 v18, 0xfffffc10, v19
	s_wait_dscnt 0x0
	v_lshrrev_b32_e32 v19, 16, v13
	global_store_b32 v[6:7], v23, off
	v_cmp_lt_i32_e32 vcc_lo, 5, v3
	v_cmp_eq_u32_e64 s0, 3, v3
	v_lshrrev_b32_e32 v3, 2, v15
	v_cmp_ne_u32_e64 s1, v16, v22
	s_delay_alu instid0(VALU_DEP_3) | instskip(SKIP_1) | instid1(VALU_DEP_2)
	s_or_b32 vcc_lo, s0, vcc_lo
	s_wait_alu 0xfffe
	v_add_co_ci_u32_e32 v16, vcc_lo, 0, v3, vcc_lo
	s_delay_alu instid0(VALU_DEP_2) | instskip(SKIP_2) | instid1(VALU_DEP_3)
	v_cndmask_b32_e64 v15, 0, 1, s1
	v_cmp_ne_u32_e32 vcc_lo, 0, v17
	v_lshrrev_b32_e32 v22, 8, v11
	v_or_b32_e32 v3, v20, v15
	v_lshl_or_b32 v15, v18, 12, v8
	s_wait_alu 0xfffd
	v_cndmask_b32_e64 v17, 0, 1, vcc_lo
	v_cmp_gt_i32_e32 vcc_lo, 1, v18
	v_bfe_u32 v24, v11, 20, 11
	s_delay_alu instid0(VALU_DEP_3)
	v_lshl_or_b32 v17, v17, 9, 0x7c00
	s_wait_alu 0xfffd
	v_cndmask_b32_e32 v20, v15, v3, vcc_lo
	v_mul_f16_e32 v15, v56, v19
	v_mul_f64_e32 v[3:4], s[8:9], v[4:5]
	v_and_or_b32 v5, 0x1ff, v11, v10
	v_cmp_gt_i32_e32 vcc_lo, 31, v21
	v_cmp_eq_u32_e64 s1, 0x40f, v21
	v_fmac_f16_e32 v15, v54, v13
	v_lshrrev_b32_e32 v11, 16, v11
	s_wait_alu 0xfffd
	v_cndmask_b32_e32 v10, 0x7c00, v16, vcc_lo
	v_cmp_ne_u32_e32 vcc_lo, 0, v5
	v_and_b32_e32 v16, 7, v20
	v_cvt_f32_f16_e32 v15, v15
	s_wait_alu 0xf1ff
	v_cndmask_b32_e64 v10, v10, v17, s1
	s_wait_alu 0xfffd
	v_cndmask_b32_e64 v5, 0, 1, vcc_lo
	v_cmp_lt_i32_e32 vcc_lo, 5, v16
	v_cmp_eq_u32_e64 s0, 3, v16
	v_cvt_f64_f32_e32 v[15:16], v15
	v_lshrrev_b32_e32 v17, 2, v20
	v_and_or_b32 v22, 0xffe, v22, v5
	v_sub_nc_u32_e32 v5, 0x3f1, v24
	s_or_b32 vcc_lo, s0, vcc_lo
	v_and_or_b32 v10, 0x8000, v12, v10
	s_wait_alu 0xfffe
	v_add_co_ci_u32_e32 v17, vcc_lo, 0, v17, vcc_lo
	v_or_b32_e32 v20, 0x1000, v22
	v_med3_i32 v5, v5, 0, 13
	v_cmp_ne_u32_e32 vcc_lo, 0, v8
	v_and_b32_e32 v10, 0xffff, v10
	s_movk_i32 s0, 0xf6dc
	s_mov_b32 s1, -1
	v_lshrrev_b32_e32 v21, v5, v20
	s_wait_alu 0xfffd
	v_cndmask_b32_e64 v8, 0, 1, vcc_lo
	v_cmp_gt_i32_e32 vcc_lo, 31, v18
	s_wait_alu 0xfffe
	s_mul_u64 s[4:5], s[4:5], s[0:1]
	v_lshlrev_b32_e32 v5, v5, v21
	v_lshl_or_b32 v8, v8, 9, 0x7c00
	s_wait_alu 0xfffd
	v_cndmask_b32_e32 v17, 0x7c00, v17, vcc_lo
	v_cmp_eq_u32_e32 vcc_lo, 0x40f, v18
	v_and_or_b32 v3, 0x1ff, v4, v3
	v_lshrrev_b32_e32 v18, 16, v9
	v_lshrrev_b32_e32 v9, 8, v4
	s_wait_alu 0xfffd
	v_cndmask_b32_e32 v17, v17, v8, vcc_lo
	v_mul_f16_e32 v8, v56, v13
	v_cmp_ne_u32_e32 vcc_lo, v5, v20
	v_add_nc_u32_e32 v20, 0xfffffc10, v24
	s_delay_alu instid0(VALU_DEP_4) | instskip(NEXT) | instid1(VALU_DEP_4)
	v_and_or_b32 v17, 0x8000, v18, v17
	v_fma_f16 v8, v54, v19, -v8
	s_wait_alu 0xfffd
	v_cndmask_b32_e64 v5, 0, 1, vcc_lo
	v_cmp_ne_u32_e32 vcc_lo, 0, v3
	v_bfe_u32 v19, v4, 20, 11
	v_lshl_or_b32 v17, v17, 16, v10
	v_cvt_f32_f16_e32 v12, v8
	v_or_b32_e32 v5, v21, v5
	s_wait_alu 0xfffd
	v_cndmask_b32_e64 v3, 0, 1, vcc_lo
	v_cmp_gt_i32_e32 vcc_lo, 1, v20
	v_lshrrev_b32_e32 v4, 16, v4
	v_cvt_f64_f32_e32 v[12:13], v12
	s_delay_alu instid0(VALU_DEP_4) | instskip(SKIP_3) | instid1(VALU_DEP_4)
	v_and_or_b32 v21, 0xffe, v9, v3
	v_mul_f64_e32 v[8:9], s[8:9], v[15:16]
	v_sub_nc_u32_e32 v3, 0x3f1, v19
	v_lshl_or_b32 v15, v20, 12, v22
	v_or_b32_e32 v16, 0x1000, v21
	s_delay_alu instid0(VALU_DEP_3)
	v_med3_i32 v23, v3, 0, 13
	ds_load_2addr_b32 v[2:3], v2 offset0:40 offset1:157
	s_wait_alu 0xfffd
	v_cndmask_b32_e32 v15, v15, v5, vcc_lo
	s_wait_alu 0xfffe
	v_add_co_u32 v5, vcc_lo, v6, s4
	v_lshrrev_b32_e32 v18, v23, v16
	s_wait_alu 0xfffd
	v_add_co_ci_u32_e32 v6, vcc_lo, s5, v7, vcc_lo
	v_and_b32_e32 v10, 7, v15
	v_lshrrev_b32_e32 v7, 2, v15
	v_lshlrev_b32_e32 v23, v23, v18
	v_add_nc_u32_e32 v15, 0xfffffc10, v19
	global_store_b32 v[5:6], v17, off
	v_cmp_lt_i32_e32 vcc_lo, 5, v10
	v_cmp_eq_u32_e64 s0, 3, v10
	v_cmp_ne_u32_e64 s1, v23, v16
	s_delay_alu instid0(VALU_DEP_2) | instskip(NEXT) | instid1(VALU_DEP_1)
	s_or_b32 vcc_lo, s0, vcc_lo
	v_cndmask_b32_e64 v10, 0, 1, s1
	s_wait_alu 0xfffe
	v_add_co_ci_u32_e32 v16, vcc_lo, 0, v7, vcc_lo
	s_wait_dscnt 0x0
	v_lshrrev_b32_e32 v19, 16, v2
	v_cmp_ne_u32_e32 vcc_lo, 0, v22
	v_or_b32_e32 v7, v18, v10
	v_lshl_or_b32 v10, v15, 12, v21
	v_cmp_eq_u32_e64 s1, 0x40f, v20
	v_mul_f16_e32 v22, v55, v19
	s_wait_alu 0xfffd
	v_cndmask_b32_e64 v18, 0, 1, vcc_lo
	v_cmp_gt_i32_e32 vcc_lo, 1, v15
	v_and_or_b32 v23, 0x1ff, v9, v8
	v_fmac_f16_e32 v22, v53, v2
	v_bfe_u32 v25, v9, 20, 11
	s_wait_alu 0xfffd
	v_cndmask_b32_e32 v10, v10, v7, vcc_lo
	v_mul_f64_e32 v[7:8], s[8:9], v[12:13]
	v_cmp_gt_i32_e32 vcc_lo, 31, v20
	v_cvt_f32_f16_e32 v12, v22
	v_lshl_or_b32 v18, v18, 9, 0x7c00
	v_and_b32_e32 v24, 7, v10
	v_lshrrev_b32_e32 v10, 2, v10
	s_wait_alu 0xfffd
	v_cndmask_b32_e32 v16, 0x7c00, v16, vcc_lo
	v_cmp_ne_u32_e32 vcc_lo, 0, v23
	v_cvt_f64_f32_e32 v[12:13], v12
	v_lshrrev_b32_e32 v23, 8, v9
	v_cmp_eq_u32_e64 s0, 3, v24
	s_wait_alu 0xf1ff
	v_cndmask_b32_e64 v16, v16, v18, s1
	s_wait_alu 0xfffd
	v_cndmask_b32_e64 v22, 0, 1, vcc_lo
	v_cmp_lt_i32_e32 vcc_lo, 5, v24
	v_mul_f16_e32 v2, v55, v2
	v_and_or_b32 v16, 0x8000, v11, v16
	s_delay_alu instid0(VALU_DEP_4)
	v_and_or_b32 v22, 0xffe, v23, v22
	v_sub_nc_u32_e32 v23, 0x3f1, v25
	s_or_b32 vcc_lo, s0, vcc_lo
	v_fma_f16 v2, v53, v19, -v2
	s_wait_alu 0xfffe
	v_add_co_ci_u32_e32 v10, vcc_lo, 0, v10, vcc_lo
	v_or_b32_e32 v18, 0x1000, v22
	v_med3_i32 v20, v23, 0, 13
	v_cmp_ne_u32_e32 vcc_lo, 0, v21
	v_cvt_f32_f16_e32 v2, v2
	v_and_b32_e32 v16, 0xffff, v16
	s_delay_alu instid0(VALU_DEP_4) | instskip(SKIP_3) | instid1(VALU_DEP_3)
	v_lshrrev_b32_e32 v23, v20, v18
	s_wait_alu 0xfffd
	v_cndmask_b32_e64 v21, 0, 1, vcc_lo
	v_cmp_gt_i32_e32 vcc_lo, 31, v15
	v_lshlrev_b32_e32 v20, v20, v23
	s_delay_alu instid0(VALU_DEP_3)
	v_lshl_or_b32 v21, v21, 9, 0x7c00
	s_wait_alu 0xfffd
	v_cndmask_b32_e32 v10, 0x7c00, v10, vcc_lo
	v_cmp_eq_u32_e32 vcc_lo, 0x40f, v15
	v_and_or_b32 v7, 0x1ff, v8, v7
	s_wait_alu 0xfffd
	s_delay_alu instid0(VALU_DEP_3) | instskip(SKIP_3) | instid1(VALU_DEP_4)
	v_cndmask_b32_e32 v15, v10, v21, vcc_lo
	v_cmp_ne_u32_e32 vcc_lo, v20, v18
	v_add_nc_u32_e32 v18, 0xfffffc10, v25
	v_lshrrev_b32_e32 v21, 8, v8
	v_and_or_b32 v4, 0x8000, v4, v15
	s_wait_alu 0xfffd
	v_cndmask_b32_e64 v10, 0, 1, vcc_lo
	v_cmp_ne_u32_e32 vcc_lo, 0, v7
	v_lshl_or_b32 v20, v18, 12, v22
	v_lshl_or_b32 v16, v4, 16, v16
	s_delay_alu instid0(VALU_DEP_4)
	v_or_b32_e32 v19, v23, v10
	s_wait_alu 0xfffd
	v_cndmask_b32_e64 v7, 0, 1, vcc_lo
	v_mul_f64_e32 v[10:11], s[8:9], v[12:13]
	v_cmp_gt_i32_e32 vcc_lo, 1, v18
	v_cvt_f64_f32_e32 v[12:13], v2
	v_bfe_u32 v23, v8, 20, 11
	v_and_or_b32 v15, 0xffe, v21, v7
	v_add_co_u32 v4, s1, v5, s2
	s_wait_alu 0xfffd
	v_cndmask_b32_e32 v2, v20, v19, vcc_lo
	v_sub_nc_u32_e32 v7, 0x3f1, v23
	v_or_b32_e32 v17, 0x1000, v15
	s_wait_alu 0xf1ff
	v_add_co_ci_u32_e64 v5, s1, s3, v6, s1
	v_and_b32_e32 v19, 7, v2
	v_med3_i32 v7, v7, 0, 13
	v_lshrrev_b32_e32 v2, 2, v2
	global_store_b32 v[4:5], v16, off
	v_lshrrev_b32_e32 v16, 16, v14
	v_cmp_lt_i32_e32 vcc_lo, 5, v19
	v_cmp_eq_u32_e64 s0, 3, v19
	v_lshrrev_b32_e32 v19, v7, v17
	v_lshrrev_b32_e32 v8, 16, v8
	v_mul_f16_e32 v20, v52, v16
	s_delay_alu instid0(VALU_DEP_4) | instskip(NEXT) | instid1(VALU_DEP_3)
	s_or_b32 vcc_lo, s0, vcc_lo
	v_lshlrev_b32_e32 v6, v7, v19
	s_wait_alu 0xfffe
	v_add_co_ci_u32_e32 v2, vcc_lo, 0, v2, vcc_lo
	v_cmp_gt_i32_e32 vcc_lo, 31, v18
	v_fmac_f16_e32 v20, v50, v14
	v_mul_f16_e32 v14, v52, v14
	s_wait_alu 0xfffd
	v_cndmask_b32_e32 v2, 0x7c00, v2, vcc_lo
	v_cmp_ne_u32_e32 vcc_lo, v6, v17
	v_add_nc_u32_e32 v17, 0xfffffc10, v23
	v_fma_f16 v14, v50, v16, -v14
	v_lshrrev_b32_e32 v16, 16, v9
	s_wait_alu 0xfffd
	v_cndmask_b32_e64 v6, 0, 1, vcc_lo
	v_cmp_ne_u32_e32 vcc_lo, 0, v22
	v_lshl_or_b32 v22, v17, 12, v15
	v_and_or_b32 v10, 0x1ff, v11, v10
	v_cvt_f32_f16_e32 v14, v14
	v_or_b32_e32 v19, v19, v6
	s_wait_alu 0xfffd
	v_cndmask_b32_e64 v21, 0, 1, vcc_lo
	v_cmp_gt_i32_e32 vcc_lo, 1, v17
	v_mul_f64_e32 v[6:7], s[8:9], v[12:13]
	v_cvt_f32_f16_e32 v12, v20
	v_lshrrev_b32_e32 v20, 8, v11
	v_lshl_or_b32 v21, v21, 9, 0x7c00
	s_wait_alu 0xfffd
	v_cndmask_b32_e32 v19, v22, v19, vcc_lo
	v_cmp_ne_u32_e32 vcc_lo, 0, v10
	v_bfe_u32 v22, v11, 20, 11
	v_cvt_f64_f32_e32 v[12:13], v12
	s_delay_alu instid0(VALU_DEP_4)
	v_and_b32_e32 v23, 7, v19
	s_wait_alu 0xfffd
	v_cndmask_b32_e64 v10, 0, 1, vcc_lo
	v_cmp_eq_u32_e32 vcc_lo, 0x40f, v18
	v_lshrrev_b32_e32 v9, 2, v19
	v_cmp_eq_u32_e64 s0, 3, v23
	s_delay_alu instid0(VALU_DEP_4)
	v_and_or_b32 v20, 0xffe, v20, v10
	v_sub_nc_u32_e32 v10, 0x3f1, v22
	s_wait_alu 0xfffd
	v_cndmask_b32_e32 v2, v2, v21, vcc_lo
	v_cmp_lt_i32_e32 vcc_lo, 5, v23
	v_or_b32_e32 v18, 0x1000, v20
	v_med3_i32 v10, v10, 0, 13
	s_delay_alu instid0(VALU_DEP_4)
	v_and_or_b32 v2, 0x8000, v16, v2
	s_or_b32 vcc_lo, s0, vcc_lo
	s_wait_alu 0xfffe
	v_add_co_ci_u32_e32 v21, vcc_lo, 0, v9, vcc_lo
	v_lshrrev_b32_e32 v19, v10, v18
	v_cmp_ne_u32_e32 vcc_lo, 0, v15
	v_and_b32_e32 v2, 0xffff, v2
	s_delay_alu instid0(VALU_DEP_3) | instskip(SKIP_4) | instid1(VALU_DEP_3)
	v_lshlrev_b32_e32 v23, v10, v19
	s_wait_alu 0xfffd
	v_cndmask_b32_e64 v15, 0, 1, vcc_lo
	v_cmp_gt_i32_e32 vcc_lo, 31, v17
	v_cvt_f64_f32_e32 v[9:10], v14
	v_lshl_or_b32 v15, v15, 9, 0x7c00
	s_wait_alu 0xfffd
	v_cndmask_b32_e32 v14, 0x7c00, v21, vcc_lo
	v_cmp_ne_u32_e32 vcc_lo, v23, v18
	v_and_or_b32 v6, 0x1ff, v7, v6
	v_add_nc_u32_e32 v21, 0xfffffc10, v22
	s_wait_alu 0xfffd
	v_cndmask_b32_e64 v18, 0, 1, vcc_lo
	v_cmp_eq_u32_e32 vcc_lo, 0x40f, v17
	s_delay_alu instid0(VALU_DEP_3)
	v_lshl_or_b32 v17, v21, 12, v20
	v_mul_f64_e32 v[12:13], s[8:9], v[12:13]
	s_wait_alu 0xfffd
	v_cndmask_b32_e32 v14, v14, v15, vcc_lo
	v_cmp_ne_u32_e32 vcc_lo, 0, v6
	v_or_b32_e32 v15, v19, v18
	v_lshrrev_b32_e32 v18, 8, v7
	v_bfe_u32 v19, v7, 20, 11
	v_and_or_b32 v8, 0x8000, v8, v14
	s_wait_alu 0xfffd
	v_cndmask_b32_e64 v6, 0, 1, vcc_lo
	v_cmp_gt_i32_e32 vcc_lo, 1, v21
	v_sub_nc_u32_e32 v16, 0x3f1, v19
	s_delay_alu instid0(VALU_DEP_3)
	v_and_or_b32 v6, 0xffe, v18, v6
	s_wait_alu 0xfffd
	v_cndmask_b32_e32 v15, v17, v15, vcc_lo
	v_lshrrev_b32_e32 v18, 16, v3
	v_med3_i32 v16, v16, 0, 13
	v_or_b32_e32 v14, 0x1000, v6
	s_delay_alu instid0(VALU_DEP_4) | instskip(NEXT) | instid1(VALU_DEP_1)
	v_and_b32_e32 v17, 7, v15
	v_cmp_lt_i32_e32 vcc_lo, 5, v17
	v_cmp_eq_u32_e64 s0, 3, v17
	v_lshl_or_b32 v17, v8, 16, v2
	v_lshrrev_b32_e32 v2, 2, v15
	v_lshrrev_b32_e32 v15, v16, v14
	v_mul_f64_e32 v[8:9], s[8:9], v[9:10]
	s_or_b32 vcc_lo, s0, vcc_lo
	v_mul_f16_e32 v10, v51, v18
	s_wait_alu 0xfffe
	v_add_co_ci_u32_e32 v2, vcc_lo, 0, v2, vcc_lo
	v_add_co_u32 v4, vcc_lo, v4, s4
	s_wait_alu 0xfffd
	v_add_co_ci_u32_e32 v5, vcc_lo, s5, v5, vcc_lo
	v_lshlrev_b32_e32 v16, v16, v15
	v_cmp_gt_i32_e32 vcc_lo, 31, v21
	v_fmac_f16_e32 v10, v49, v3
	v_and_or_b32 v12, 0x1ff, v13, v12
	v_mul_f16_e32 v3, v51, v3
	global_store_b32 v[4:5], v17, off
	s_wait_alu 0xfffd
	v_cndmask_b32_e32 v2, 0x7c00, v2, vcc_lo
	v_cmp_ne_u32_e32 vcc_lo, v16, v14
	v_add_nc_u32_e32 v16, 0xfffffc10, v19
	v_cvt_f32_f16_e32 v10, v10
	v_fma_f16 v3, v49, v18, -v3
	s_wait_alu 0xfffd
	v_cndmask_b32_e64 v14, 0, 1, vcc_lo
	v_cmp_ne_u32_e32 vcc_lo, 0, v20
	v_lshl_or_b32 v22, v16, 12, v6
	s_delay_alu instid0(VALU_DEP_3) | instskip(SKIP_4) | instid1(VALU_DEP_3)
	v_or_b32_e32 v20, v15, v14
	s_wait_alu 0xfffd
	v_cndmask_b32_e64 v19, 0, 1, vcc_lo
	v_cmp_gt_i32_e32 vcc_lo, 1, v16
	v_cvt_f64_f32_e32 v[14:15], v10
	v_lshl_or_b32 v19, v19, 9, 0x7c00
	s_wait_alu 0xfffd
	v_cndmask_b32_e32 v10, v22, v20, vcc_lo
	v_cmp_ne_u32_e32 vcc_lo, 0, v12
	v_lshrrev_b32_e32 v20, 8, v13
	v_bfe_u32 v22, v13, 20, 11
	v_lshrrev_b32_e32 v13, 16, v13
	v_and_b32_e32 v23, 7, v10
	s_wait_alu 0xfffd
	v_cndmask_b32_e64 v12, 0, 1, vcc_lo
	v_cmp_eq_u32_e32 vcc_lo, 0x40f, v21
	v_lshrrev_b32_e32 v10, 2, v10
	v_and_or_b32 v8, 0x1ff, v9, v8
	v_cmp_eq_u32_e64 s0, 3, v23
	v_and_or_b32 v12, 0xffe, v20, v12
	s_wait_alu 0xfffd
	v_cndmask_b32_e32 v19, v2, v19, vcc_lo
	v_sub_nc_u32_e32 v2, 0x3f1, v22
	v_cmp_lt_i32_e32 vcc_lo, 5, v23
	v_bfe_u32 v18, v9, 20, 11
	v_or_b32_e32 v20, 0x1000, v12
	v_add_nc_u32_e32 v22, 0xfffffc10, v22
	v_med3_i32 v2, v2, 0, 13
	s_or_b32 vcc_lo, s0, vcc_lo
	v_sub_nc_u32_e32 v25, 0x3f1, v18
	s_wait_alu 0xfffe
	v_add_co_ci_u32_e32 v23, vcc_lo, 0, v10, vcc_lo
	v_lshrrev_b32_e32 v24, v2, v20
	v_cmp_ne_u32_e32 vcc_lo, 0, v6
	v_lshrrev_b32_e32 v10, 8, v9
	v_lshrrev_b32_e32 v21, 16, v11
	v_cvt_f32_f16_e32 v11, v3
	v_lshlrev_b32_e32 v2, v2, v24
	s_wait_alu 0xfffd
	v_cndmask_b32_e64 v6, 0, 1, vcc_lo
	v_cmp_ne_u32_e32 vcc_lo, 0, v8
	v_add_nc_u32_e32 v18, 0xfffffc10, v18
	s_delay_alu instid0(VALU_DEP_3)
	v_lshl_or_b32 v6, v6, 9, 0x7c00
	s_wait_alu 0xfffd
	v_cndmask_b32_e64 v8, 0, 1, vcc_lo
	v_cmp_ne_u32_e32 vcc_lo, v2, v20
	v_mul_f64_e32 v[2:3], s[8:9], v[14:15]
	v_lshl_or_b32 v15, v22, 12, v12
	s_delay_alu instid0(VALU_DEP_4) | instskip(SKIP_4) | instid1(VALU_DEP_3)
	v_and_or_b32 v8, 0xffe, v10, v8
	s_wait_alu 0xfffd
	v_cndmask_b32_e64 v20, 0, 1, vcc_lo
	v_cmp_gt_i32_e32 vcc_lo, 31, v16
	v_cvt_f64_f32_e32 v[10:11], v11
	v_or_b32_e32 v14, v24, v20
	v_or_b32_e32 v20, 0x1000, v8
	v_med3_i32 v24, v25, 0, 13
	s_wait_alu 0xfffd
	v_cndmask_b32_e32 v23, 0x7c00, v23, vcc_lo
	v_cmp_gt_i32_e32 vcc_lo, 1, v22
	s_wait_alu 0xfffd
	v_cndmask_b32_e32 v14, v15, v14, vcc_lo
	v_lshrrev_b32_e32 v15, v24, v20
	v_cmp_eq_u32_e32 vcc_lo, 0x40f, v16
	s_delay_alu instid0(VALU_DEP_2)
	v_lshlrev_b32_e32 v24, v24, v15
	s_wait_alu 0xfffd
	v_cndmask_b32_e32 v16, v23, v6, vcc_lo
	v_lshrrev_b32_e32 v23, 16, v7
	ds_load_2addr_b32 v[6:7], v1 offset0:84 offset1:201
	v_and_or_b32 v1, 0x8000, v21, v19
	v_cmp_ne_u32_e64 s0, v24, v20
	v_and_or_b32 v16, 0x8000, v23, v16
	s_delay_alu instid0(VALU_DEP_3)
	v_and_b32_e32 v19, 0xffff, v1
	v_and_b32_e32 v25, 7, v14
	s_wait_alu 0xf1ff
	v_cndmask_b32_e64 v17, 0, 1, s0
	v_lshrrev_b32_e32 v1, 2, v14
	v_and_or_b32 v20, 0x1ff, v3, v2
	v_cmp_lt_i32_e32 vcc_lo, 5, v25
	v_cmp_eq_u32_e64 s0, 3, v25
	v_or_b32_e32 v14, v15, v17
	v_lshl_or_b32 v15, v18, 12, v8
	v_lshrrev_b32_e32 v21, 8, v3
	v_bfe_u32 v23, v3, 20, 11
	s_or_b32 vcc_lo, s0, vcc_lo
	v_lshl_or_b32 v16, v16, 16, v19
	s_wait_alu 0xfffe
	v_add_co_ci_u32_e32 v17, vcc_lo, 0, v1, vcc_lo
	v_cmp_ne_u32_e32 vcc_lo, 0, v12
	v_mul_f64_e32 v[1:2], s[8:9], v[10:11]
	v_lshrrev_b32_e32 v3, 16, v3
	s_wait_alu 0xfffd
	v_cndmask_b32_e64 v12, 0, 1, vcc_lo
	v_cmp_gt_i32_e32 vcc_lo, 1, v18
	s_delay_alu instid0(VALU_DEP_2)
	v_lshl_or_b32 v12, v12, 9, 0x7c00
	s_wait_alu 0xfffd
	v_cndmask_b32_e32 v14, v15, v14, vcc_lo
	v_cmp_gt_i32_e32 vcc_lo, 31, v22
	s_wait_dscnt 0x0
	v_lshrrev_b32_e32 v15, 16, v6
	s_wait_alu 0xfffd
	v_cndmask_b32_e32 v10, 0x7c00, v17, vcc_lo
	v_cmp_ne_u32_e32 vcc_lo, 0, v20
	s_delay_alu instid0(VALU_DEP_3)
	v_mul_f16_e32 v11, v48, v15
	s_wait_alu 0xfffd
	v_cndmask_b32_e64 v20, 0, 1, vcc_lo
	v_cmp_eq_u32_e32 vcc_lo, 0x40f, v22
	v_and_b32_e32 v17, 7, v14
	v_lshrrev_b32_e32 v14, 2, v14
	v_fmac_f16_e32 v11, v47, v6
	v_and_or_b32 v20, 0xffe, v21, v20
	s_wait_alu 0xfffd
	v_cndmask_b32_e32 v12, v10, v12, vcc_lo
	v_cmp_lt_i32_e32 vcc_lo, 5, v17
	v_cmp_eq_u32_e64 s0, 3, v17
	v_cvt_f32_f16_e32 v10, v11
	v_sub_nc_u32_e32 v21, 0x3f1, v23
	v_mul_f16_e32 v6, v48, v6
	v_or_b32_e32 v17, 0x1000, v20
	s_or_b32 vcc_lo, s0, vcc_lo
	v_cvt_f64_f32_e32 v[10:11], v10
	s_wait_alu 0xfffe
	v_add_co_ci_u32_e32 v14, vcc_lo, 0, v14, vcc_lo
	v_cmp_ne_u32_e32 vcc_lo, 0, v8
	v_med3_i32 v21, v21, 0, 13
	v_fma_f16 v6, v47, v15, -v6
	v_and_or_b32 v12, 0x8000, v13, v12
	v_and_or_b32 v1, 0x1ff, v2, v1
	s_wait_alu 0xfffd
	v_cndmask_b32_e64 v8, 0, 1, vcc_lo
	v_cmp_gt_i32_e32 vcc_lo, 31, v18
	v_lshrrev_b32_e32 v22, v21, v17
	v_cvt_f32_f16_e32 v6, v6
	v_lshrrev_b32_e32 v15, 8, v2
	v_lshl_or_b32 v8, v8, 9, 0x7c00
	s_wait_alu 0xfffd
	v_cndmask_b32_e32 v14, 0x7c00, v14, vcc_lo
	v_cmp_eq_u32_e32 vcc_lo, 0x40f, v18
	v_lshlrev_b32_e32 v13, v21, v22
	v_lshrrev_b32_e32 v18, 16, v9
	v_bfe_u32 v21, v2, 20, 11
	v_and_b32_e32 v12, 0xffff, v12
	s_wait_alu 0xfffd
	v_cndmask_b32_e32 v14, v14, v8, vcc_lo
	v_cvt_f64_f32_e32 v[8:9], v6
	v_cmp_ne_u32_e32 vcc_lo, v13, v17
	v_add_nc_u32_e32 v17, 0xfffffc10, v23
	s_delay_alu instid0(VALU_DEP_4) | instskip(SKIP_3) | instid1(VALU_DEP_3)
	v_and_or_b32 v14, 0x8000, v18, v14
	s_wait_alu 0xfffd
	v_cndmask_b32_e64 v13, 0, 1, vcc_lo
	v_cmp_ne_u32_e32 vcc_lo, 0, v1
	v_lshl_or_b32 v23, v14, 16, v12
	s_delay_alu instid0(VALU_DEP_3) | instskip(SKIP_4) | instid1(VALU_DEP_3)
	v_or_b32_e32 v6, v22, v13
	s_wait_alu 0xfffd
	v_cndmask_b32_e64 v1, 0, 1, vcc_lo
	v_lshl_or_b32 v13, v17, 12, v20
	v_cmp_gt_i32_e32 vcc_lo, 1, v17
	v_and_or_b32 v22, 0xffe, v15, v1
	ds_load_2addr_b32 v[0:1], v0 offset0:18 offset1:135
	v_sub_nc_u32_e32 v15, 0x3f1, v21
	v_mul_f64_e32 v[10:11], s[8:9], v[10:11]
	s_wait_alu 0xfffd
	v_cndmask_b32_e32 v6, v13, v6, vcc_lo
	v_or_b32_e32 v13, 0x1000, v22
	v_add_co_u32 v4, vcc_lo, v4, s2
	v_med3_i32 v15, v15, 0, 13
	s_delay_alu instid0(VALU_DEP_4)
	v_and_b32_e32 v18, 7, v6
	s_wait_alu 0xfffd
	v_add_co_ci_u32_e32 v5, vcc_lo, s3, v5, vcc_lo
	v_lshrrev_b32_e32 v6, 2, v6
	v_lshrrev_b32_e32 v19, v15, v13
	v_cmp_lt_i32_e32 vcc_lo, 5, v18
	v_cmp_eq_u32_e64 s0, 3, v18
	v_add_nc_u32_e32 v21, 0xfffffc10, v21
	s_delay_alu instid0(VALU_DEP_4) | instskip(NEXT) | instid1(VALU_DEP_3)
	v_lshlrev_b32_e32 v12, v15, v19
	s_or_b32 vcc_lo, s0, vcc_lo
	v_mul_f64_e32 v[8:9], s[8:9], v[8:9]
	s_wait_dscnt 0x0
	v_lshrrev_b32_e32 v18, 16, v0
	v_cmp_ne_u32_e64 s1, v12, v13
	s_wait_alu 0xfffe
	v_add_co_ci_u32_e32 v6, vcc_lo, 0, v6, vcc_lo
	v_cmp_ne_u32_e32 vcc_lo, 0, v20
	v_mul_f16_e32 v13, v46, v18
	s_wait_alu 0xf1ff
	v_cndmask_b32_e64 v12, 0, 1, s1
	v_lshl_or_b32 v14, v21, 12, v22
	s_wait_alu 0xfffd
	v_cndmask_b32_e64 v15, 0, 1, vcc_lo
	v_fmac_f16_e32 v13, v45, v0
	v_or_b32_e32 v12, v19, v12
	v_cmp_gt_i32_e32 vcc_lo, 1, v21
	v_mul_f16_e32 v0, v46, v0
	v_lshl_or_b32 v20, v15, 9, 0x7c00
	s_wait_alu 0xfffd
	v_cndmask_b32_e32 v19, v14, v12, vcc_lo
	v_cvt_f32_f16_e32 v12, v13
	v_cmp_gt_i32_e32 vcc_lo, 31, v17
	v_and_or_b32 v10, 0x1ff, v11, v10
	v_fma_f16 v0, v45, v18, -v0
	v_and_b32_e32 v24, 7, v19
	v_cvt_f64_f32_e32 v[12:13], v12
	s_wait_alu 0xfffd
	v_cndmask_b32_e32 v6, 0x7c00, v6, vcc_lo
	v_add_co_u32 v14, vcc_lo, v4, s4
	s_wait_alu 0xfffd
	v_add_co_ci_u32_e32 v15, vcc_lo, s5, v5, vcc_lo
	v_cmp_eq_u32_e32 vcc_lo, 0x40f, v17
	v_cmp_ne_u32_e64 s0, 0, v10
	v_lshrrev_b32_e32 v19, 2, v19
	v_lshrrev_b32_e32 v17, 8, v11
	v_cvt_f32_f16_e32 v0, v0
	global_store_b32 v[4:5], v16, off
	global_store_b32 v[14:15], v23, off
	s_wait_alu 0xf1ff
	v_cndmask_b32_e64 v10, 0, 1, s0
	v_cmp_eq_u32_e64 s0, 3, v24
	v_bfe_u32 v26, v9, 20, 11
	s_wait_alu 0xfffd
	v_cndmask_b32_e32 v6, v6, v20, vcc_lo
	v_cmp_lt_i32_e32 vcc_lo, 5, v24
	v_bfe_u32 v20, v11, 20, 11
	v_and_or_b32 v10, 0xffe, v17, v10
	v_lshrrev_b32_e32 v11, 16, v11
	v_and_or_b32 v6, 0x8000, v3, v6
	s_or_b32 vcc_lo, s0, vcc_lo
	v_sub_nc_u32_e32 v17, 0x3f1, v20
	s_wait_alu 0xfffe
	v_add_co_ci_u32_e32 v19, vcc_lo, 0, v19, vcc_lo
	v_cmp_ne_u32_e32 vcc_lo, 0, v22
	v_or_b32_e32 v24, 0x1000, v10
	v_med3_i32 v17, v17, 0, 13
	v_and_or_b32 v3, 0x1ff, v9, v8
	v_and_b32_e32 v6, 0xffff, v6
	s_wait_alu 0xfffd
	v_cndmask_b32_e64 v22, 0, 1, vcc_lo
	v_cmp_gt_i32_e32 vcc_lo, 31, v21
	v_lshrrev_b32_e32 v25, v17, v24
	s_delay_alu instid0(VALU_DEP_3) | instskip(SKIP_4) | instid1(VALU_DEP_2)
	v_lshl_or_b32 v22, v22, 9, 0x7c00
	s_wait_alu 0xfffd
	v_cndmask_b32_e32 v19, 0x7c00, v19, vcc_lo
	v_cmp_eq_u32_e32 vcc_lo, 0x40f, v21
	s_wait_alu 0xfffd
	v_dual_cndmask_b32 v8, v19, v22 :: v_dual_lshlrev_b32 v17, v17, v25
	v_cmp_ne_u32_e32 vcc_lo, 0, v3
	v_lshrrev_b32_e32 v19, 16, v2
	v_lshrrev_b32_e32 v22, 8, v9
	v_mul_f64_e32 v[2:3], s[8:9], v[12:13]
	v_lshrrev_b32_e32 v9, 16, v9
	s_wait_alu 0xfffd
	v_cndmask_b32_e64 v21, 0, 1, vcc_lo
	v_cmp_ne_u32_e32 vcc_lo, v17, v24
	v_add_nc_u32_e32 v17, 0xfffffc10, v20
	v_sub_nc_u32_e32 v20, 0x3f1, v26
	v_and_or_b32 v8, 0x8000, v19, v8
	v_and_or_b32 v18, 0xffe, v22, v21
	s_wait_alu 0xfffd
	v_cndmask_b32_e64 v12, 0, 1, vcc_lo
	v_lshl_or_b32 v22, v17, 12, v10
	v_cmp_gt_i32_e32 vcc_lo, 1, v17
	v_lshl_or_b32 v16, v8, 16, v6
	v_or_b32_e32 v24, 0x1000, v18
	v_or_b32_e32 v21, v25, v12
	v_cvt_f64_f32_e32 v[12:13], v0
	v_med3_i32 v0, v20, 0, 13
	v_lshrrev_b32_e32 v8, 16, v7
	v_cmp_eq_u32_e64 s1, 0x40f, v17
	s_wait_alu 0xfffd
	v_cndmask_b32_e32 v19, v22, v21, vcc_lo
	v_add_co_u32 v4, vcc_lo, v14, s2
	v_lshrrev_b32_e32 v20, v0, v24
	s_wait_alu 0xfffd
	v_add_co_ci_u32_e32 v5, vcc_lo, s3, v15, vcc_lo
	v_and_b32_e32 v6, 7, v19
	v_add_nc_u32_e32 v21, 0xfffffc10, v26
	v_lshlrev_b32_e32 v0, v0, v20
	v_mul_f16_e32 v14, v44, v8
	s_delay_alu instid0(VALU_DEP_4) | instskip(NEXT) | instid1(VALU_DEP_4)
	v_cmp_lt_i32_e32 vcc_lo, 5, v6
	v_lshl_or_b32 v15, v21, 12, v18
	s_delay_alu instid0(VALU_DEP_4) | instskip(NEXT) | instid1(VALU_DEP_4)
	v_cmp_ne_u32_e64 s0, v0, v24
	v_fmac_f16_e32 v14, v42, v7
	s_wait_alu 0xf1ff
	s_delay_alu instid0(VALU_DEP_2)
	v_cndmask_b32_e64 v0, 0, 1, s0
	v_cmp_eq_u32_e64 s0, 3, v6
	v_lshrrev_b32_e32 v6, 2, v19
	v_and_or_b32 v2, 0x1ff, v3, v2
	v_cvt_f32_f16_e32 v14, v14
	v_or_b32_e32 v0, v20, v0
	s_or_b32 vcc_lo, s0, vcc_lo
	v_lshrrev_b32_e32 v19, 8, v3
	s_wait_alu 0xfffe
	v_add_co_ci_u32_e32 v6, vcc_lo, 0, v6, vcc_lo
	v_cmp_gt_i32_e32 vcc_lo, 1, v21
	v_bfe_u32 v20, v3, 20, 11
	s_wait_alu 0xfffd
	v_cndmask_b32_e32 v0, v15, v0, vcc_lo
	v_cmp_ne_u32_e32 vcc_lo, 0, v2
	v_cvt_f64_f32_e32 v[14:15], v14
	v_mul_f64_e32 v[12:13], s[8:9], v[12:13]
	s_delay_alu instid0(VALU_DEP_4)
	v_and_b32_e32 v22, 7, v0
	s_wait_alu 0xfffd
	v_cndmask_b32_e64 v2, 0, 1, vcc_lo
	v_cmp_ne_u32_e32 vcc_lo, 0, v10
	v_lshrrev_b32_e32 v0, 2, v0
	v_cmp_eq_u32_e64 s0, 3, v22
	s_delay_alu instid0(VALU_DEP_4)
	v_and_or_b32 v2, 0xffe, v19, v2
	s_wait_alu 0xfffd
	v_cndmask_b32_e64 v10, 0, 1, vcc_lo
	v_cmp_gt_i32_e32 vcc_lo, 31, v17
	v_sub_nc_u32_e32 v19, 0x3f1, v20
	v_or_b32_e32 v23, 0x1000, v2
	s_delay_alu instid0(VALU_DEP_4) | instskip(SKIP_4) | instid1(VALU_DEP_3)
	v_lshl_or_b32 v10, v10, 9, 0x7c00
	s_wait_alu 0xfffd
	v_cndmask_b32_e32 v6, 0x7c00, v6, vcc_lo
	v_cmp_lt_i32_e32 vcc_lo, 5, v22
	v_med3_i32 v19, v19, 0, 13
	v_cndmask_b32_e64 v6, v6, v10, s1
	s_or_b32 vcc_lo, s0, vcc_lo
	s_delay_alu instid0(VALU_DEP_2)
	v_lshrrev_b32_e32 v10, v19, v23
	s_wait_alu 0xfffe
	v_add_co_ci_u32_e32 v0, vcc_lo, 0, v0, vcc_lo
	v_cmp_ne_u32_e32 vcc_lo, 0, v18
	v_and_or_b32 v11, 0x8000, v11, v6
	v_lshlrev_b32_e32 v18, v19, v10
	v_add_nc_u32_e32 v19, 0xfffffc10, v20
	s_wait_alu 0xfffd
	v_cndmask_b32_e64 v17, 0, 1, vcc_lo
	v_cmp_gt_i32_e32 vcc_lo, 31, v21
	v_and_b32_e32 v11, 0xffff, v11
	s_delay_alu instid0(VALU_DEP_3)
	v_lshl_or_b32 v17, v17, 9, 0x7c00
	s_wait_alu 0xfffd
	v_cndmask_b32_e32 v0, 0x7c00, v0, vcc_lo
	v_cmp_ne_u32_e32 vcc_lo, v18, v23
	v_and_or_b32 v12, 0x1ff, v13, v12
	s_wait_alu 0xfffd
	v_cndmask_b32_e64 v18, 0, 1, vcc_lo
	v_cmp_eq_u32_e32 vcc_lo, 0x40f, v21
	s_delay_alu instid0(VALU_DEP_2)
	v_or_b32_e32 v10, v10, v18
	s_wait_alu 0xfffd
	v_cndmask_b32_e32 v0, v0, v17, vcc_lo
	v_mul_f16_e32 v17, v44, v7
	v_mul_f64_e32 v[6:7], s[8:9], v[14:15]
	v_lshl_or_b32 v14, v19, 12, v2
	v_cmp_gt_i32_e32 vcc_lo, 1, v19
	v_bfe_u32 v15, v13, 20, 11
	v_fma_f16 v8, v42, v8, -v17
	v_and_or_b32 v0, 0x8000, v9, v0
	v_lshrrev_b32_e32 v18, 16, v1
	s_wait_alu 0xfffd
	v_cndmask_b32_e32 v10, v14, v10, vcc_lo
	v_cmp_ne_u32_e32 vcc_lo, 0, v12
	v_cvt_f32_f16_e32 v8, v8
	v_lshrrev_b32_e32 v14, 8, v13
	v_mul_f16_e32 v21, v43, v18
	v_and_b32_e32 v17, 7, v10
	s_wait_alu 0xfffd
	v_cndmask_b32_e64 v12, 0, 1, vcc_lo
	v_cvt_f64_f32_e32 v[8:9], v8
	v_fmac_f16_e32 v21, v41, v1
	v_cmp_lt_i32_e32 vcc_lo, 5, v17
	s_delay_alu instid0(VALU_DEP_4)
	v_and_or_b32 v12, 0xffe, v14, v12
	v_sub_nc_u32_e32 v14, 0x3f1, v15
	v_cmp_eq_u32_e64 s0, 3, v17
	v_lshl_or_b32 v17, v0, 16, v11
	v_lshrrev_b32_e32 v0, 2, v10
	v_or_b32_e32 v20, 0x1000, v12
	v_med3_i32 v14, v14, 0, 13
	s_or_b32 vcc_lo, s0, vcc_lo
	v_cvt_f32_f16_e32 v10, v21
	s_wait_alu 0xfffe
	v_add_co_ci_u32_e32 v0, vcc_lo, 0, v0, vcc_lo
	v_lshrrev_b32_e32 v22, v14, v20
	v_cmp_ne_u32_e32 vcc_lo, 0, v2
	v_cvt_f64_f32_e32 v[10:11], v10
	v_mul_f16_e32 v1, v43, v1
	s_delay_alu instid0(VALU_DEP_4) | instskip(SKIP_4) | instid1(VALU_DEP_3)
	v_lshlrev_b32_e32 v14, v14, v22
	s_wait_alu 0xfffd
	v_cndmask_b32_e64 v2, 0, 1, vcc_lo
	v_cmp_gt_i32_e32 vcc_lo, 31, v19
	v_fma_f16 v18, v41, v18, -v1
	v_lshl_or_b32 v2, v2, 9, 0x7c00
	s_wait_alu 0xfffd
	v_cndmask_b32_e32 v21, 0x7c00, v0, vcc_lo
	v_and_or_b32 v0, 0x1ff, v7, v6
	v_cmp_ne_u32_e32 vcc_lo, v14, v20
	v_add_nc_u32_e32 v14, 0xfffffc10, v15
	v_lshrrev_b32_e32 v15, 8, v7
	v_bfe_u32 v20, v7, 20, 11
	v_lshrrev_b32_e32 v7, 16, v7
	s_wait_alu 0xfffd
	v_cndmask_b32_e64 v6, 0, 1, vcc_lo
	v_cmp_ne_u32_e32 vcc_lo, 0, v0
	s_delay_alu instid0(VALU_DEP_2) | instskip(SKIP_4) | instid1(VALU_DEP_3)
	v_or_b32_e32 v6, v22, v6
	s_wait_alu 0xfffd
	v_cndmask_b32_e64 v0, 0, 1, vcc_lo
	v_lshl_or_b32 v22, v14, 12, v12
	v_cmp_gt_i32_e32 vcc_lo, 1, v14
	v_and_or_b32 v15, 0xffe, v15, v0
	v_mul_f64_e32 v[0:1], s[8:9], v[8:9]
	v_sub_nc_u32_e32 v8, 0x3f1, v20
	s_wait_alu 0xfffd
	v_cndmask_b32_e32 v6, v22, v6, vcc_lo
	v_cvt_f32_f16_e32 v9, v18
	v_cmp_eq_u32_e32 vcc_lo, 0x40f, v19
	v_or_b32_e32 v18, 0x1000, v15
	v_med3_i32 v22, v8, 0, 13
	v_and_b32_e32 v23, 7, v6
	v_cvt_f64_f32_e32 v[8:9], v9
	s_wait_alu 0xfffd
	v_cndmask_b32_e32 v19, v21, v2, vcc_lo
	v_add_co_u32 v2, vcc_lo, v4, s4
	v_lshrrev_b32_e32 v24, v22, v18
	v_lshrrev_b32_e32 v21, 16, v3
	s_wait_alu 0xfffd
	v_add_co_ci_u32_e32 v3, vcc_lo, s5, v5, vcc_lo
	v_cmp_lt_i32_e32 vcc_lo, 5, v23
	v_cmp_eq_u32_e64 s0, 3, v23
	v_lshrrev_b32_e32 v6, 2, v6
	v_lshlrev_b32_e32 v22, v22, v24
	v_mul_f64_e32 v[10:11], s[8:9], v[10:11]
	v_add_nc_u32_e32 v20, 0xfffffc10, v20
	s_or_b32 vcc_lo, s0, vcc_lo
	v_and_or_b32 v19, 0x8000, v21, v19
	s_wait_alu 0xfffe
	v_add_co_ci_u32_e32 v6, vcc_lo, 0, v6, vcc_lo
	v_cmp_ne_u32_e64 s1, v22, v18
	v_cmp_ne_u32_e32 vcc_lo, 0, v12
	v_lshl_or_b32 v21, v20, 12, v15
	s_wait_alu 0xf1ff
	s_delay_alu instid0(VALU_DEP_3) | instskip(SKIP_3) | instid1(VALU_DEP_3)
	v_cndmask_b32_e64 v18, 0, 1, s1
	s_wait_alu 0xfffd
	v_cndmask_b32_e64 v12, 0, 1, vcc_lo
	v_cmp_gt_i32_e32 vcc_lo, 31, v14
	v_or_b32_e32 v18, v24, v18
	s_delay_alu instid0(VALU_DEP_3)
	v_lshl_or_b32 v12, v12, 9, 0x7c00
	s_wait_alu 0xfffd
	v_cndmask_b32_e32 v6, 0x7c00, v6, vcc_lo
	v_cmp_gt_i32_e32 vcc_lo, 1, v20
	v_and_or_b32 v0, 0x1ff, v1, v0
	s_wait_alu 0xfffd
	v_cndmask_b32_e32 v18, v21, v18, vcc_lo
	v_cmp_eq_u32_e32 vcc_lo, 0x40f, v14
	v_lshrrev_b32_e32 v14, 8, v1
	v_mul_f64_e32 v[8:9], s[8:9], v[8:9]
	v_bfe_u32 v21, v1, 20, 11
	v_lshrrev_b32_e32 v1, 16, v1
	s_wait_alu 0xfffd
	v_cndmask_b32_e32 v6, v6, v12, vcc_lo
	v_lshrrev_b32_e32 v12, 16, v13
	v_and_b32_e32 v13, 7, v18
	v_cmp_ne_u32_e32 vcc_lo, 0, v0
	s_delay_alu instid0(VALU_DEP_3)
	v_and_or_b32 v6, 0x8000, v12, v6
	v_and_b32_e32 v12, 0xffff, v19
	s_wait_alu 0xfffd
	v_cndmask_b32_e64 v0, 0, 1, vcc_lo
	v_cmp_lt_i32_e32 vcc_lo, 5, v13
	v_cmp_eq_u32_e64 s0, 3, v13
	v_and_or_b32 v10, 0x1ff, v11, v10
	v_lshl_or_b32 v12, v6, 16, v12
	v_lshrrev_b32_e32 v6, 2, v18
	v_and_or_b32 v0, 0xffe, v14, v0
	v_sub_nc_u32_e32 v14, 0x3f1, v21
	s_or_b32 vcc_lo, s0, vcc_lo
	v_lshrrev_b32_e32 v19, 8, v11
	s_wait_alu 0xfffe
	v_add_co_ci_u32_e32 v6, vcc_lo, 0, v6, vcc_lo
	v_or_b32_e32 v13, 0x1000, v0
	v_med3_i32 v14, v14, 0, 13
	v_cmp_ne_u32_e32 vcc_lo, 0, v15
	v_bfe_u32 v22, v11, 20, 11
	v_lshrrev_b32_e32 v11, 16, v11
	s_delay_alu instid0(VALU_DEP_4) | instskip(SKIP_3) | instid1(VALU_DEP_3)
	v_lshrrev_b32_e32 v18, v14, v13
	s_wait_alu 0xfffd
	v_cndmask_b32_e64 v15, 0, 1, vcc_lo
	v_cmp_gt_i32_e32 vcc_lo, 31, v20
	v_lshlrev_b32_e32 v14, v14, v18
	s_delay_alu instid0(VALU_DEP_3)
	v_lshl_or_b32 v15, v15, 9, 0x7c00
	s_wait_alu 0xfffd
	v_cndmask_b32_e32 v6, 0x7c00, v6, vcc_lo
	v_cmp_ne_u32_e32 vcc_lo, 0, v10
	v_and_or_b32 v8, 0x1ff, v9, v8
	s_wait_alu 0xfffd
	v_cndmask_b32_e64 v10, 0, 1, vcc_lo
	v_cmp_ne_u32_e32 vcc_lo, v14, v13
	v_add_nc_u32_e32 v14, 0xfffffc10, v21
	v_bfe_u32 v21, v9, 20, 11
	s_delay_alu instid0(VALU_DEP_4)
	v_and_or_b32 v10, 0xffe, v19, v10
	s_wait_alu 0xfffd
	v_cndmask_b32_e64 v13, 0, 1, vcc_lo
	v_sub_nc_u32_e32 v19, 0x3f1, v22
	v_cmp_eq_u32_e32 vcc_lo, 0x40f, v20
	v_lshrrev_b32_e32 v20, 8, v9
	s_delay_alu instid0(VALU_DEP_4)
	v_or_b32_e32 v13, v18, v13
	v_or_b32_e32 v18, 0x1000, v10
	s_wait_alu 0xfffd
	v_cndmask_b32_e32 v6, v6, v15, vcc_lo
	v_lshl_or_b32 v15, v14, 12, v0
	v_med3_i32 v19, v19, 0, 13
	v_cmp_gt_i32_e32 vcc_lo, 1, v14
	s_delay_alu instid0(VALU_DEP_4)
	v_and_or_b32 v6, 0x8000, v7, v6
	s_wait_alu 0xfffd
	v_cndmask_b32_e32 v13, v15, v13, vcc_lo
	v_lshrrev_b32_e32 v15, v19, v18
	v_cmp_ne_u32_e32 vcc_lo, 0, v8
	v_and_b32_e32 v6, 0xffff, v6
	s_delay_alu instid0(VALU_DEP_4) | instskip(NEXT) | instid1(VALU_DEP_4)
	v_and_b32_e32 v23, 7, v13
	v_lshlrev_b32_e32 v19, v19, v15
	s_wait_alu 0xfffd
	v_cndmask_b32_e64 v8, 0, 1, vcc_lo
	v_lshrrev_b32_e32 v13, 2, v13
	v_cmp_lt_i32_e32 vcc_lo, 5, v23
	v_cmp_ne_u32_e64 s0, v19, v18
	s_delay_alu instid0(VALU_DEP_4)
	v_and_or_b32 v7, 0xffe, v20, v8
	v_sub_nc_u32_e32 v8, 0x3f1, v21
	v_add_nc_u32_e32 v20, 0xfffffc10, v22
	s_wait_alu 0xf1ff
	v_cndmask_b32_e64 v18, 0, 1, s0
	v_cmp_eq_u32_e64 s0, 3, v23
	v_or_b32_e32 v19, 0x1000, v7
	v_med3_i32 v8, v8, 0, 13
	v_lshl_or_b32 v22, v20, 12, v10
	v_or_b32_e32 v15, v15, v18
	s_or_b32 vcc_lo, s0, vcc_lo
	s_wait_alu 0xfffe
	v_add_co_ci_u32_e32 v13, vcc_lo, 0, v13, vcc_lo
	v_lshrrev_b32_e32 v18, v8, v19
	v_cmp_gt_i32_e32 vcc_lo, 1, v20
	s_wait_alu 0xfffd
	s_delay_alu instid0(VALU_DEP_2) | instskip(SKIP_3) | instid1(VALU_DEP_3)
	v_dual_cndmask_b32 v15, v22, v15 :: v_dual_lshlrev_b32 v8, v8, v18
	v_cmp_ne_u32_e32 vcc_lo, 0, v0
	s_wait_alu 0xfffd
	v_cndmask_b32_e64 v0, 0, 1, vcc_lo
	v_cmp_ne_u32_e32 vcc_lo, v8, v19
	v_add_nc_u32_e32 v19, 0xfffffc10, v21
	v_and_b32_e32 v21, 7, v15
	s_delay_alu instid0(VALU_DEP_4)
	v_lshl_or_b32 v0, v0, 9, 0x7c00
	s_wait_alu 0xfffd
	v_cndmask_b32_e64 v8, 0, 1, vcc_lo
	v_cmp_gt_i32_e32 vcc_lo, 31, v14
	v_cmp_gt_i32_e64 s1, 1, v19
	v_cmp_eq_u32_e64 s0, 3, v21
	s_delay_alu instid0(VALU_DEP_4)
	v_or_b32_e32 v8, v18, v8
	v_lshl_or_b32 v18, v19, 12, v7
	s_wait_alu 0xfffd
	v_cndmask_b32_e32 v13, 0x7c00, v13, vcc_lo
	v_cmp_lt_i32_e32 vcc_lo, 5, v21
	s_wait_alu 0xf1ff
	v_cndmask_b32_e64 v8, v18, v8, s1
	v_cmp_eq_u32_e64 s1, 0x40f, v14
	s_or_b32 vcc_lo, s0, vcc_lo
	s_delay_alu instid0(VALU_DEP_2) | instskip(NEXT) | instid1(VALU_DEP_2)
	v_and_b32_e32 v14, 7, v8
	v_cndmask_b32_e64 v0, v13, v0, s1
	v_lshrrev_b32_e32 v13, 2, v15
	v_lshrrev_b32_e32 v8, 2, v8
	v_cmp_gt_i32_e64 s1, 31, v20
	v_cmp_eq_u32_e64 s0, 3, v14
	s_wait_alu 0xfffe
	v_add_co_ci_u32_e32 v13, vcc_lo, 0, v13, vcc_lo
	v_cmp_ne_u32_e32 vcc_lo, 0, v10
	s_wait_alu 0xf1ff
	s_delay_alu instid0(VALU_DEP_2) | instskip(SKIP_3) | instid1(VALU_DEP_2)
	v_cndmask_b32_e64 v13, 0x7c00, v13, s1
	s_wait_alu 0xfffd
	v_cndmask_b32_e64 v10, 0, 1, vcc_lo
	v_cmp_lt_i32_e32 vcc_lo, 5, v14
	v_lshl_or_b32 v10, v10, 9, 0x7c00
	s_or_b32 vcc_lo, s0, vcc_lo
	s_wait_alu 0xfffe
	v_add_co_ci_u32_e32 v8, vcc_lo, 0, v8, vcc_lo
	v_cmp_ne_u32_e32 vcc_lo, 0, v7
	s_wait_alu 0xfffd
	v_cndmask_b32_e64 v7, 0, 1, vcc_lo
	v_cmp_eq_u32_e32 vcc_lo, 0x40f, v20
	s_delay_alu instid0(VALU_DEP_2) | instskip(SKIP_4) | instid1(VALU_DEP_3)
	v_lshl_or_b32 v7, v7, 9, 0x7c00
	s_wait_alu 0xfffd
	v_cndmask_b32_e32 v10, v13, v10, vcc_lo
	v_cmp_gt_i32_e32 vcc_lo, 31, v19
	v_and_or_b32 v13, 0x8000, v1, v0
	v_and_or_b32 v10, 0x8000, v11, v10
	s_wait_alu 0xfffd
	v_cndmask_b32_e32 v8, 0x7c00, v8, vcc_lo
	v_cmp_eq_u32_e32 vcc_lo, 0x40f, v19
	v_lshl_or_b32 v11, v13, 16, v6
	s_wait_alu 0xfffd
	s_delay_alu instid0(VALU_DEP_3)
	v_cndmask_b32_e32 v7, v8, v7, vcc_lo
	v_lshrrev_b32_e32 v8, 16, v9
	v_and_b32_e32 v9, 0xffff, v10
	v_add_co_u32 v0, vcc_lo, v2, s2
	s_wait_alu 0xfffd
	v_add_co_ci_u32_e32 v1, vcc_lo, s3, v3, vcc_lo
	v_and_or_b32 v8, 0x8000, v8, v7
	s_delay_alu instid0(VALU_DEP_3) | instskip(SKIP_1) | instid1(VALU_DEP_3)
	v_add_co_u32 v6, vcc_lo, v0, s4
	s_wait_alu 0xfffd
	v_add_co_ci_u32_e32 v7, vcc_lo, s5, v1, vcc_lo
	s_delay_alu instid0(VALU_DEP_3) | instskip(NEXT) | instid1(VALU_DEP_3)
	v_lshl_or_b32 v10, v8, 16, v9
	v_add_co_u32 v8, vcc_lo, v6, s2
	s_wait_alu 0xfffd
	s_delay_alu instid0(VALU_DEP_3)
	v_add_co_ci_u32_e32 v9, vcc_lo, s3, v7, vcc_lo
	global_store_b32 v[4:5], v16, off
	global_store_b32 v[2:3], v17, off
	;; [unrolled: 1-line block ×5, first 2 shown]
.LBB0_10:
	s_nop 0
	s_sendmsg sendmsg(MSG_DEALLOC_VGPRS)
	s_endpgm
	.section	.rodata,"a",@progbits
	.p2align	6, 0x0
	.amdhsa_kernel bluestein_single_back_len1404_dim1_half_op_CI_CI
		.amdhsa_group_segment_fixed_size 5616
		.amdhsa_private_segment_fixed_size 0
		.amdhsa_kernarg_size 104
		.amdhsa_user_sgpr_count 2
		.amdhsa_user_sgpr_dispatch_ptr 0
		.amdhsa_user_sgpr_queue_ptr 0
		.amdhsa_user_sgpr_kernarg_segment_ptr 1
		.amdhsa_user_sgpr_dispatch_id 0
		.amdhsa_user_sgpr_private_segment_size 0
		.amdhsa_wavefront_size32 1
		.amdhsa_uses_dynamic_stack 0
		.amdhsa_enable_private_segment 0
		.amdhsa_system_sgpr_workgroup_id_x 1
		.amdhsa_system_sgpr_workgroup_id_y 0
		.amdhsa_system_sgpr_workgroup_id_z 0
		.amdhsa_system_sgpr_workgroup_info 0
		.amdhsa_system_vgpr_workitem_id 0
		.amdhsa_next_free_vgpr 238
		.amdhsa_next_free_sgpr 20
		.amdhsa_reserve_vcc 1
		.amdhsa_float_round_mode_32 0
		.amdhsa_float_round_mode_16_64 0
		.amdhsa_float_denorm_mode_32 3
		.amdhsa_float_denorm_mode_16_64 3
		.amdhsa_fp16_overflow 0
		.amdhsa_workgroup_processor_mode 1
		.amdhsa_memory_ordered 1
		.amdhsa_forward_progress 0
		.amdhsa_round_robin_scheduling 0
		.amdhsa_exception_fp_ieee_invalid_op 0
		.amdhsa_exception_fp_denorm_src 0
		.amdhsa_exception_fp_ieee_div_zero 0
		.amdhsa_exception_fp_ieee_overflow 0
		.amdhsa_exception_fp_ieee_underflow 0
		.amdhsa_exception_fp_ieee_inexact 0
		.amdhsa_exception_int_div_zero 0
	.end_amdhsa_kernel
	.text
.Lfunc_end0:
	.size	bluestein_single_back_len1404_dim1_half_op_CI_CI, .Lfunc_end0-bluestein_single_back_len1404_dim1_half_op_CI_CI
                                        ; -- End function
	.section	.AMDGPU.csdata,"",@progbits
; Kernel info:
; codeLenInByte = 27368
; NumSgprs: 22
; NumVgprs: 238
; ScratchSize: 0
; MemoryBound: 0
; FloatMode: 240
; IeeeMode: 1
; LDSByteSize: 5616 bytes/workgroup (compile time only)
; SGPRBlocks: 2
; VGPRBlocks: 29
; NumSGPRsForWavesPerEU: 22
; NumVGPRsForWavesPerEU: 238
; Occupancy: 6
; WaveLimiterHint : 1
; COMPUTE_PGM_RSRC2:SCRATCH_EN: 0
; COMPUTE_PGM_RSRC2:USER_SGPR: 2
; COMPUTE_PGM_RSRC2:TRAP_HANDLER: 0
; COMPUTE_PGM_RSRC2:TGID_X_EN: 1
; COMPUTE_PGM_RSRC2:TGID_Y_EN: 0
; COMPUTE_PGM_RSRC2:TGID_Z_EN: 0
; COMPUTE_PGM_RSRC2:TIDIG_COMP_CNT: 0
	.text
	.p2alignl 7, 3214868480
	.fill 96, 4, 3214868480
	.type	__hip_cuid_de32646024429420,@object ; @__hip_cuid_de32646024429420
	.section	.bss,"aw",@nobits
	.globl	__hip_cuid_de32646024429420
__hip_cuid_de32646024429420:
	.byte	0                               ; 0x0
	.size	__hip_cuid_de32646024429420, 1

	.ident	"AMD clang version 19.0.0git (https://github.com/RadeonOpenCompute/llvm-project roc-6.4.0 25133 c7fe45cf4b819c5991fe208aaa96edf142730f1d)"
	.section	".note.GNU-stack","",@progbits
	.addrsig
	.addrsig_sym __hip_cuid_de32646024429420
	.amdgpu_metadata
---
amdhsa.kernels:
  - .args:
      - .actual_access:  read_only
        .address_space:  global
        .offset:         0
        .size:           8
        .value_kind:     global_buffer
      - .actual_access:  read_only
        .address_space:  global
        .offset:         8
        .size:           8
        .value_kind:     global_buffer
      - .actual_access:  read_only
        .address_space:  global
        .offset:         16
        .size:           8
        .value_kind:     global_buffer
      - .actual_access:  read_only
        .address_space:  global
        .offset:         24
        .size:           8
        .value_kind:     global_buffer
      - .actual_access:  read_only
        .address_space:  global
        .offset:         32
        .size:           8
        .value_kind:     global_buffer
      - .offset:         40
        .size:           8
        .value_kind:     by_value
      - .address_space:  global
        .offset:         48
        .size:           8
        .value_kind:     global_buffer
      - .address_space:  global
        .offset:         56
        .size:           8
        .value_kind:     global_buffer
      - .address_space:  global
        .offset:         64
        .size:           8
        .value_kind:     global_buffer
      - .address_space:  global
        .offset:         72
        .size:           8
        .value_kind:     global_buffer
      - .offset:         80
        .size:           4
        .value_kind:     by_value
      - .address_space:  global
        .offset:         88
        .size:           8
        .value_kind:     global_buffer
      - .address_space:  global
        .offset:         96
        .size:           8
        .value_kind:     global_buffer
    .group_segment_fixed_size: 5616
    .kernarg_segment_align: 8
    .kernarg_segment_size: 104
    .language:       OpenCL C
    .language_version:
      - 2
      - 0
    .max_flat_workgroup_size: 117
    .name:           bluestein_single_back_len1404_dim1_half_op_CI_CI
    .private_segment_fixed_size: 0
    .sgpr_count:     22
    .sgpr_spill_count: 0
    .symbol:         bluestein_single_back_len1404_dim1_half_op_CI_CI.kd
    .uniform_work_group_size: 1
    .uses_dynamic_stack: false
    .vgpr_count:     238
    .vgpr_spill_count: 0
    .wavefront_size: 32
    .workgroup_processor_mode: 1
amdhsa.target:   amdgcn-amd-amdhsa--gfx1201
amdhsa.version:
  - 1
  - 2
...

	.end_amdgpu_metadata
